;; amdgpu-corpus repo=ROCm/rocFFT kind=compiled arch=gfx1030 opt=O3
	.text
	.amdgcn_target "amdgcn-amd-amdhsa--gfx1030"
	.amdhsa_code_object_version 6
	.protected	bluestein_single_fwd_len4050_dim1_half_op_CI_CI ; -- Begin function bluestein_single_fwd_len4050_dim1_half_op_CI_CI
	.globl	bluestein_single_fwd_len4050_dim1_half_op_CI_CI
	.p2align	8
	.type	bluestein_single_fwd_len4050_dim1_half_op_CI_CI,@function
bluestein_single_fwd_len4050_dim1_half_op_CI_CI: ; @bluestein_single_fwd_len4050_dim1_half_op_CI_CI
; %bb.0:
	s_load_dwordx4 s[16:19], s[4:5], 0x28
	v_mul_u32_u24_e32 v1, 0x1e6, v0
	v_mov_b32_e32 v25, 0
	s_mov_b32 s0, exec_lo
	v_lshrrev_b32_e32 v1, 16, v1
	v_add_nc_u32_e32 v24, s6, v1
	s_waitcnt lgkmcnt(0)
	v_cmpx_gt_u64_e64 s[16:17], v[24:25]
	s_cbranch_execz .LBB0_2
; %bb.1:
	s_clause 0x1
	s_load_dwordx4 s[8:11], s[4:5], 0x18
	s_load_dwordx4 s[0:3], s[4:5], 0x0
	v_mul_lo_u16 v1, 0x87, v1
	v_mov_b32_e32 v46, 2
	v_sub_nc_u16 v45, v0, v1
	v_and_b32_e32 v148, 0xffff, v45
	v_lshlrev_b32_e32 v153, 2, v148
	v_add_co_u32 v79, null, 0x2a3, v148
	s_waitcnt lgkmcnt(0)
	s_load_dwordx4 s[12:15], s[8:9], 0x0
	v_add_co_u32 v93, null, 0x438, v148
	v_add_co_u32 v107, s6, s0, v153
	v_add_co_ci_u32_e64 v108, null, s1, 0, s6
	global_load_dword v151, v153, s[0:1] offset:1620
	v_add_co_u32 v21, vcc_lo, 0x800, v107
	v_add_co_ci_u32_e32 v22, vcc_lo, 0, v108, vcc_lo
	v_add_co_u32 v27, vcc_lo, 0x1000, v107
	v_add_co_ci_u32_e32 v28, vcc_lo, 0, v108, vcc_lo
	;; [unrolled: 2-line block ×3, first 2 shown]
	s_waitcnt lgkmcnt(0)
	v_mad_u64_u32 v[0:1], null, s14, v24, 0
	v_mad_u64_u32 v[2:3], null, s12, v148, 0
	v_add_co_u32 v31, vcc_lo, 0x2000, v107
	v_add_co_ci_u32_e32 v32, vcc_lo, 0, v108, vcc_lo
	v_add_co_u32 v33, vcc_lo, 0x2800, v107
	v_mad_u64_u32 v[4:5], null, s15, v24, v[1:2]
	v_add_co_ci_u32_e32 v34, vcc_lo, 0, v108, vcc_lo
	s_mul_i32 s7, s13, 0x654
	s_mul_hi_u32 s8, s12, 0x654
	s_mul_i32 s6, s12, 0x654
	s_add_i32 s7, s8, s7
	v_mad_u64_u32 v[5:6], null, s13, v148, v[3:4]
	v_mov_b32_e32 v1, v4
	s_clause 0x3
	global_load_dword v154, v153, s[0:1]
	global_load_dword v138, v153, s[0:1] offset:540
	global_load_dword v152, v[21:22], off offset:1192
	global_load_dword v149, v[27:28], off offset:764
	s_mul_i32 s8, s13, 0xffffc928
	v_lshlrev_b64 v[0:1], 2, v[0:1]
	v_mov_b32_e32 v3, v5
	s_sub_i32 s8, s8, s12
	v_add_nc_u32_e32 v146, 0x800, v153
	v_add_nc_u32_e32 v109, 0xe00, v153
	;; [unrolled: 1-line block ×3, first 2 shown]
	v_lshlrev_b64 v[2:3], 2, v[2:3]
	v_add_co_u32 v0, vcc_lo, s18, v0
	v_add_co_ci_u32_e32 v1, vcc_lo, s19, v1, vcc_lo
	v_add_nc_u32_e32 v163, 0x1a00, v153
	v_add_co_u32 v0, vcc_lo, v0, v2
	v_add_co_ci_u32_e32 v1, vcc_lo, v1, v3, vcc_lo
	v_add_nc_u32_e32 v140, 0x2000, v153
	v_add_co_u32 v2, vcc_lo, v0, s6
	v_add_co_ci_u32_e32 v3, vcc_lo, s7, v1, vcc_lo
	global_load_dword v8, v[0:1], off
	v_add_nc_u32_e32 v162, 0x400, v153
	v_add_nc_u32_e32 v110, 0x2800, v153
	global_load_dword v7, v[2:3], off
	v_add_co_u32 v0, vcc_lo, v2, s6
	v_add_co_ci_u32_e32 v1, vcc_lo, s7, v3, vcc_lo
	v_add_nc_u32_e32 v160, 0x1000, v153
	v_add_co_u32 v2, vcc_lo, v0, s6
	v_add_co_ci_u32_e32 v3, vcc_lo, s7, v1, vcc_lo
	global_load_dword v6, v[0:1], off
	v_add_nc_u32_e32 v137, 0x2e00, v153
	v_add_nc_u32_e32 v158, 0x1c00, v153
	global_load_dword v4, v[2:3], off
	v_add_co_u32 v0, vcc_lo, v2, s6
	v_add_co_ci_u32_e32 v1, vcc_lo, s7, v3, vcc_lo
	v_add_nc_u32_e32 v111, 0x3400, v153
	v_add_co_u32 v9, vcc_lo, v0, s6
	v_add_co_ci_u32_e32 v10, vcc_lo, s7, v1, vcc_lo
	v_add_co_u32 v35, vcc_lo, 0x3000, v107
	v_add_co_ci_u32_e32 v36, vcc_lo, 0, v108, vcc_lo
	s_clause 0x1
	global_load_dword v147, v[29:30], off offset:336
	global_load_dword v145, v[29:30], off offset:1956
	global_load_dword v5, v[0:1], off
	global_load_dword v3, v[9:10], off
	v_add_co_u32 v0, vcc_lo, v9, s6
	v_add_co_ci_u32_e32 v1, vcc_lo, s7, v10, vcc_lo
	v_add_co_u32 v25, vcc_lo, 0x3800, v107
	v_add_co_ci_u32_e32 v26, vcc_lo, 0, v108, vcc_lo
	global_load_dword v144, v[31:32], off offset:1528
	global_load_dword v2, v[0:1], off
	v_add_co_u32 v0, vcc_lo, v0, s6
	v_add_co_ci_u32_e32 v1, vcc_lo, s7, v1, vcc_lo
	global_load_dword v142, v[33:34], off offset:1100
	v_add_co_u32 v9, vcc_lo, v0, s6
	v_add_co_ci_u32_e32 v10, vcc_lo, s7, v1, vcc_lo
	global_load_dword v0, v[0:1], off
	v_add_co_u32 v11, vcc_lo, v9, s6
	v_add_co_ci_u32_e32 v12, vcc_lo, s7, v10, vcc_lo
	global_load_dword v141, v[35:36], off offset:672
	global_load_dword v1, v[9:10], off
	s_clause 0x2
	global_load_dword v139, v[25:26], off offset:244
	global_load_dword v136, v[21:22], off offset:112
	;; [unrolled: 1-line block ×3, first 2 shown]
	global_load_dword v9, v[11:12], off
	s_clause 0x3
	global_load_dword v133, v[27:28], off offset:1304
	global_load_dword v132, v[29:30], off offset:876
	;; [unrolled: 1-line block ×4, first 2 shown]
	v_mad_u64_u32 v[13:14], null, 0xffffc928, s12, v[11:12]
	v_add_nc_u32_e32 v156, 0x2a00, v153
	v_add_nc_u32_e32 v134, 0x3a00, v153
	;; [unrolled: 1-line block ×7, first 2 shown]
	v_add_co_u32 v10, vcc_lo, v13, s6
	v_add_nc_u32_e32 v155, 0x3200, v153
	v_lshrrev_b16 v115, 1, v93
	v_add_co_ci_u32_e32 v11, vcc_lo, s7, v14, vcc_lo
	global_load_dword v13, v[13:14], off
	v_add_co_u32 v14, vcc_lo, v10, s6
	v_add_co_ci_u32_e32 v15, vcc_lo, s7, v11, vcc_lo
	global_load_dword v12, v[10:11], off
	v_add_co_u32 v16, vcc_lo, v14, s6
	;; [unrolled: 3-line block ×7, first 2 shown]
	v_add_co_ci_u32_e32 v40, vcc_lo, s7, v38, vcc_lo
	global_load_dword v129, v[33:34], off offset:1640
	global_load_dword v17, v[37:38], off
	v_add_co_u32 v19, vcc_lo, v39, s6
	v_add_co_ci_u32_e32 v20, vcc_lo, s7, v40, vcc_lo
	global_load_dword v18, v[39:40], off
	global_load_dword v128, v[35:36], off offset:1212
	v_add_co_u32 v95, null, 0x4bf, v148
	v_mad_u64_u32 v[37:38], null, 0xffffc928, s12, v[19:20]
	v_add_nc_u32_e32 v241, 0x600, v153
	v_lshrrev_b16 v166, 1, v95
	v_add_nc_u32_e32 v38, s8, v38
	global_load_dword v19, v[19:20], off
	s_clause 0x1
	global_load_dword v126, v153, s[0:1] offset:1080
	global_load_dword v127, v[25:26], off offset:784
	global_load_dword v20, v[37:38], off
	v_add_co_u32 v37, vcc_lo, v37, s6
	v_add_co_ci_u32_e32 v38, vcc_lo, s7, v38, vcc_lo
	global_load_dword v125, v[21:22], off offset:652
	v_add_co_u32 v22, vcc_lo, v37, s6
	v_add_co_ci_u32_e32 v23, vcc_lo, s7, v38, vcc_lo
	global_load_dword v21, v[37:38], off
	v_add_co_u32 v37, vcc_lo, v22, s6
	v_add_co_ci_u32_e32 v38, vcc_lo, s7, v23, vcc_lo
	global_load_dword v123, v[27:28], off offset:1844
	global_load_dword v22, v[22:23], off
	global_load_dword v124, v[27:28], off offset:224
	global_load_dword v23, v[37:38], off
	v_add_co_u32 v27, vcc_lo, v37, s6
	v_add_co_ci_u32_e32 v28, vcc_lo, s7, v38, vcc_lo
	global_load_dword v122, v[29:30], off offset:1416
	v_add_co_u32 v29, vcc_lo, v27, s6
	v_add_co_ci_u32_e32 v30, vcc_lo, s7, v28, vcc_lo
	global_load_dword v121, v[31:32], off offset:988
	global_load_dword v27, v[27:28], off
	s_clause 0x1
	global_load_dword v120, v[33:34], off offset:560
	global_load_dword v118, v[35:36], off offset:1752
	global_load_dword v31, v[29:30], off
	v_add_co_u32 v28, vcc_lo, v29, s6
	v_add_co_ci_u32_e32 v29, vcc_lo, s7, v30, vcc_lo
	global_load_dword v119, v[35:36], off offset:132
	v_add_co_u32 v33, vcc_lo, v28, s6
	v_add_co_ci_u32_e32 v34, vcc_lo, s7, v29, vcc_lo
	global_load_dword v32, v[28:29], off
	v_add_co_u32 v29, vcc_lo, v33, s6
	v_add_co_ci_u32_e32 v30, vcc_lo, s7, v34, vcc_lo
	global_load_dword v28, v[33:34], off
	;; [unrolled: 3-line block ×3, first 2 shown]
	global_load_dword v29, v[33:34], off
	global_load_dword v117, v[25:26], off offset:1324
	s_load_dwordx4 s[8:11], s[10:11], 0x0
	v_mul_lo_u16 v33, v45, 10
	v_cmp_gt_u16_e32 vcc_lo, 15, v45
	v_lshlrev_b32_sdwa v164, v46, v33 dst_sel:DWORD dst_unused:UNUSED_PAD src0_sel:DWORD src1_sel:WORD_0
	s_waitcnt vmcnt(54)
	v_lshrrev_b32_e32 v34, 16, v8
	v_mul_f16_sdwa v35, v154, v8 dst_sel:DWORD dst_unused:UNUSED_PAD src0_sel:WORD_1 src1_sel:DWORD
	s_waitcnt vmcnt(53)
	v_lshrrev_b32_e32 v37, 16, v7
	v_mul_f16_sdwa v38, v151, v7 dst_sel:DWORD dst_unused:UNUSED_PAD src0_sel:WORD_1 src1_sel:DWORD
	v_mul_f16_sdwa v36, v154, v34 dst_sel:DWORD dst_unused:UNUSED_PAD src0_sel:WORD_1 src1_sel:DWORD
	v_fma_f16 v34, v154, v34, -v35
	v_fmac_f16_e32 v36, v154, v8
	v_mul_f16_sdwa v8, v151, v37 dst_sel:DWORD dst_unused:UNUSED_PAD src0_sel:WORD_1 src1_sel:DWORD
	v_fma_f16 v37, v151, v37, -v38
	s_waitcnt vmcnt(52)
	v_lshrrev_b32_e32 v35, 16, v6
	v_mul_f16_sdwa v38, v152, v6 dst_sel:DWORD dst_unused:UNUSED_PAD src0_sel:WORD_1 src1_sel:DWORD
	v_pack_b32_f16 v34, v36, v34
	v_fmac_f16_e32 v8, v151, v7
	s_waitcnt vmcnt(51)
	v_lshrrev_b32_e32 v36, 16, v4
	v_mul_f16_sdwa v7, v152, v35 dst_sel:DWORD dst_unused:UNUSED_PAD src0_sel:WORD_1 src1_sel:DWORD
	v_fma_f16 v35, v152, v35, -v38
	v_mul_f16_sdwa v39, v149, v4 dst_sel:DWORD dst_unused:UNUSED_PAD src0_sel:WORD_1 src1_sel:DWORD
	v_pack_b32_f16 v8, v8, v37
	v_fmac_f16_e32 v7, v152, v6
	v_mul_f16_sdwa v6, v149, v36 dst_sel:DWORD dst_unused:UNUSED_PAD src0_sel:WORD_1 src1_sel:DWORD
	v_fma_f16 v36, v149, v36, -v39
	ds_write_b32 v153, v8 offset:1620
	v_pack_b32_f16 v7, v7, v35
	s_waitcnt vmcnt(48)
	v_lshrrev_b32_e32 v37, 16, v5
	v_mul_f16_sdwa v38, v147, v5 dst_sel:DWORD dst_unused:UNUSED_PAD src0_sel:WORD_1 src1_sel:DWORD
	v_fmac_f16_e32 v6, v149, v4
	s_waitcnt vmcnt(47)
	v_lshrrev_b32_e32 v35, 16, v3
	ds_write_b32 v153, v7 offset:3240
	v_mul_f16_sdwa v4, v147, v37 dst_sel:DWORD dst_unused:UNUSED_PAD src0_sel:WORD_1 src1_sel:DWORD
	v_fma_f16 v8, v147, v37, -v38
	v_mul_f16_sdwa v37, v145, v3 dst_sel:DWORD dst_unused:UNUSED_PAD src0_sel:WORD_1 src1_sel:DWORD
	v_pack_b32_f16 v6, v6, v36
	v_fmac_f16_e32 v4, v147, v5
	v_mul_f16_sdwa v5, v145, v35 dst_sel:DWORD dst_unused:UNUSED_PAD src0_sel:WORD_1 src1_sel:DWORD
	v_fma_f16 v7, v145, v35, -v37
	s_waitcnt vmcnt(45)
	v_lshrrev_b32_e32 v35, 16, v2
	v_mul_f16_sdwa v36, v144, v2 dst_sel:DWORD dst_unused:UNUSED_PAD src0_sel:WORD_1 src1_sel:DWORD
	v_pack_b32_f16 v4, v4, v8
	v_fmac_f16_e32 v5, v145, v3
	ds_write_b32 v153, v6 offset:4860
	v_mul_f16_sdwa v3, v144, v35 dst_sel:DWORD dst_unused:UNUSED_PAD src0_sel:WORD_1 src1_sel:DWORD
	v_fma_f16 v6, v144, v35, -v36
	s_waitcnt vmcnt(43)
	v_lshrrev_b32_e32 v8, 16, v0
	v_mul_f16_sdwa v35, v142, v0 dst_sel:DWORD dst_unused:UNUSED_PAD src0_sel:WORD_1 src1_sel:DWORD
	ds_write_b32 v153, v4 offset:6480
	v_pack_b32_f16 v4, v5, v7
	v_fmac_f16_e32 v3, v144, v2
	s_waitcnt vmcnt(41)
	v_lshrrev_b32_e32 v5, 16, v1
	v_mul_f16_sdwa v2, v142, v8 dst_sel:DWORD dst_unused:UNUSED_PAD src0_sel:WORD_1 src1_sel:DWORD
	v_fma_f16 v7, v142, v8, -v35
	v_mul_f16_sdwa v8, v141, v1 dst_sel:DWORD dst_unused:UNUSED_PAD src0_sel:WORD_1 src1_sel:DWORD
	ds_write_b32 v153, v4 offset:8100
	v_pack_b32_f16 v3, v3, v6
	v_mul_f16_sdwa v4, v141, v5 dst_sel:DWORD dst_unused:UNUSED_PAD src0_sel:WORD_1 src1_sel:DWORD
	s_waitcnt vmcnt(37)
	v_lshrrev_b32_e32 v6, 16, v9
	v_fmac_f16_e32 v2, v142, v0
	v_fma_f16 v0, v141, v5, -v8
	v_mul_f16_sdwa v5, v139, v9 dst_sel:DWORD dst_unused:UNUSED_PAD src0_sel:WORD_1 src1_sel:DWORD
	v_fmac_f16_e32 v4, v141, v1
	v_mul_f16_sdwa v1, v139, v6 dst_sel:DWORD dst_unused:UNUSED_PAD src0_sel:WORD_1 src1_sel:DWORD
	ds_write_b32 v153, v3 offset:9720
	v_pack_b32_f16 v2, v2, v7
	v_fma_f16 v3, v139, v6, -v5
	v_pack_b32_f16 v0, v4, v0
	v_fmac_f16_e32 v1, v139, v9
	ds_write_b32 v153, v2 offset:11340
	s_waitcnt vmcnt(32)
	v_lshrrev_b32_e32 v4, 16, v13
	v_mul_f16_sdwa v2, v138, v13 dst_sel:DWORD dst_unused:UNUSED_PAD src0_sel:WORD_1 src1_sel:DWORD
	ds_write_b32 v153, v0 offset:12960
	v_pack_b32_f16 v0, v1, v3
	v_mul_f16_sdwa v1, v138, v4 dst_sel:DWORD dst_unused:UNUSED_PAD src0_sel:WORD_1 src1_sel:DWORD
	s_waitcnt vmcnt(31)
	v_lshrrev_b32_e32 v3, 16, v12
	v_fma_f16 v2, v138, v4, -v2
	v_mul_f16_sdwa v4, v136, v12 dst_sel:DWORD dst_unused:UNUSED_PAD src0_sel:WORD_1 src1_sel:DWORD
	ds_write_b32 v153, v0 offset:14580
	v_fmac_f16_e32 v1, v138, v13
	v_mul_f16_sdwa v0, v136, v3 dst_sel:DWORD dst_unused:UNUSED_PAD src0_sel:WORD_1 src1_sel:DWORD
	s_waitcnt vmcnt(30)
	v_lshrrev_b32_e32 v5, 16, v11
	v_mul_f16_sdwa v6, v135, v11 dst_sel:DWORD dst_unused:UNUSED_PAD src0_sel:WORD_1 src1_sel:DWORD
	v_fma_f16 v3, v136, v3, -v4
	v_pack_b32_f16 v1, v1, v2
	v_fmac_f16_e32 v0, v136, v12
	v_mul_f16_sdwa v2, v135, v5 dst_sel:DWORD dst_unused:UNUSED_PAD src0_sel:WORD_1 src1_sel:DWORD
	v_fma_f16 v4, v135, v5, -v6
	s_waitcnt vmcnt(29)
	v_lshrrev_b32_e32 v5, 16, v10
	v_mul_f16_sdwa v6, v133, v10 dst_sel:DWORD dst_unused:UNUSED_PAD src0_sel:WORD_1 src1_sel:DWORD
	ds_write2_b32 v153, v34, v1 offset1:135
	v_pack_b32_f16 v0, v0, v3
	v_fmac_f16_e32 v2, v135, v11
	v_mul_f16_sdwa v1, v133, v5 dst_sel:DWORD dst_unused:UNUSED_PAD src0_sel:WORD_1 src1_sel:DWORD
	s_waitcnt vmcnt(28)
	v_lshrrev_b32_e32 v3, 16, v15
	v_fma_f16 v5, v133, v5, -v6
	v_mul_f16_sdwa v6, v132, v15 dst_sel:DWORD dst_unused:UNUSED_PAD src0_sel:WORD_1 src1_sel:DWORD
	v_pack_b32_f16 v2, v2, v4
	v_fmac_f16_e32 v1, v133, v10
	v_mul_f16_sdwa v4, v132, v3 dst_sel:DWORD dst_unused:UNUSED_PAD src0_sel:WORD_1 src1_sel:DWORD
	s_waitcnt vmcnt(27)
	v_lshrrev_b32_e32 v7, 16, v14
	v_fma_f16 v3, v132, v3, -v6
	v_mul_f16_sdwa v6, v131, v14 dst_sel:DWORD dst_unused:UNUSED_PAD src0_sel:WORD_1 src1_sel:DWORD
	;; [unrolled: 7-line block ×3, first 2 shown]
	v_pack_b32_f16 v3, v4, v3
	v_fmac_f16_e32 v5, v131, v14
	v_mul_f16_sdwa v4, v130, v8 dst_sel:DWORD dst_unused:UNUSED_PAD src0_sel:WORD_1 src1_sel:DWORD
	s_waitcnt vmcnt(24)
	v_lshrrev_b32_e32 v9, 16, v17
	v_mul_f16_sdwa v10, v129, v17 dst_sel:DWORD dst_unused:UNUSED_PAD src0_sel:WORD_1 src1_sel:DWORD
	v_fma_f16 v7, v130, v8, -v7
	v_pack_b32_f16 v5, v5, v6
	v_fmac_f16_e32 v4, v130, v16
	v_mul_f16_sdwa v6, v129, v9 dst_sel:DWORD dst_unused:UNUSED_PAD src0_sel:WORD_1 src1_sel:DWORD
	v_fma_f16 v8, v129, v9, -v10
	s_waitcnt vmcnt(23)
	v_lshrrev_b32_e32 v9, 16, v18
	s_waitcnt vmcnt(22)
	v_mul_f16_sdwa v10, v128, v18 dst_sel:DWORD dst_unused:UNUSED_PAD src0_sel:WORD_1 src1_sel:DWORD
	v_pack_b32_f16 v4, v4, v7
	s_waitcnt vmcnt(21)
	v_lshrrev_b32_e32 v7, 16, v19
	v_fmac_f16_e32 v6, v129, v17
	v_mul_f16_sdwa v11, v128, v9 dst_sel:DWORD dst_unused:UNUSED_PAD src0_sel:WORD_1 src1_sel:DWORD
	v_fma_f16 v9, v128, v9, -v10
	s_waitcnt vmcnt(19)
	v_mul_f16_sdwa v10, v127, v19 dst_sel:DWORD dst_unused:UNUSED_PAD src0_sel:WORD_1 src1_sel:DWORD
	v_mul_f16_sdwa v12, v127, v7 dst_sel:DWORD dst_unused:UNUSED_PAD src0_sel:WORD_1 src1_sel:DWORD
	v_pack_b32_f16 v6, v6, v8
	v_fmac_f16_e32 v11, v128, v18
	s_waitcnt vmcnt(18)
	v_lshrrev_b32_e32 v8, 16, v20
	v_fma_f16 v7, v127, v7, -v10
	v_fmac_f16_e32 v12, v127, v19
	v_mul_f16_sdwa v10, v126, v20 dst_sel:DWORD dst_unused:UNUSED_PAD src0_sel:WORD_1 src1_sel:DWORD
	v_pack_b32_f16 v9, v11, v9
	v_mul_f16_sdwa v11, v126, v8 dst_sel:DWORD dst_unused:UNUSED_PAD src0_sel:WORD_1 src1_sel:DWORD
	s_waitcnt vmcnt(16)
	v_lshrrev_b32_e32 v13, 16, v21
	v_pack_b32_f16 v7, v12, v7
	v_fma_f16 v8, v126, v8, -v10
	v_mul_f16_sdwa v10, v125, v21 dst_sel:DWORD dst_unused:UNUSED_PAD src0_sel:WORD_1 src1_sel:DWORD
	v_fmac_f16_e32 v11, v126, v20
	v_mul_f16_sdwa v12, v125, v13 dst_sel:DWORD dst_unused:UNUSED_PAD src0_sel:WORD_1 src1_sel:DWORD
	s_waitcnt vmcnt(14)
	v_lshrrev_b32_e32 v14, 16, v22
	s_waitcnt vmcnt(13)
	v_mul_f16_sdwa v15, v124, v22 dst_sel:DWORD dst_unused:UNUSED_PAD src0_sel:WORD_1 src1_sel:DWORD
	v_fma_f16 v10, v125, v13, -v10
	v_pack_b32_f16 v8, v11, v8
	v_fmac_f16_e32 v12, v125, v21
	v_mul_f16_sdwa v11, v124, v14 dst_sel:DWORD dst_unused:UNUSED_PAD src0_sel:WORD_1 src1_sel:DWORD
	v_fma_f16 v13, v124, v14, -v15
	s_waitcnt vmcnt(12)
	v_lshrrev_b32_e32 v14, 16, v23
	v_mul_f16_sdwa v15, v123, v23 dst_sel:DWORD dst_unused:UNUSED_PAD src0_sel:WORD_1 src1_sel:DWORD
	ds_write_b32 v153, v8 offset:1080
	v_pack_b32_f16 v8, v12, v10
	v_fmac_f16_e32 v11, v124, v22
	v_mul_f16_sdwa v10, v123, v14 dst_sel:DWORD dst_unused:UNUSED_PAD src0_sel:WORD_1 src1_sel:DWORD
	v_fma_f16 v12, v123, v14, -v15
	s_waitcnt vmcnt(9)
	v_lshrrev_b32_e32 v14, 16, v27
	v_mul_f16_sdwa v15, v122, v27 dst_sel:DWORD dst_unused:UNUSED_PAD src0_sel:WORD_1 src1_sel:DWORD
	ds_write2_b32 v146, v0, v8 offset0:28 offset1:163
	v_pack_b32_f16 v0, v11, v13
	v_fmac_f16_e32 v10, v123, v23
	v_mul_f16_sdwa v8, v122, v14 dst_sel:DWORD dst_unused:UNUSED_PAD src0_sel:WORD_1 src1_sel:DWORD
	v_fma_f16 v11, v122, v14, -v15
	s_waitcnt vmcnt(6)
	v_lshrrev_b32_e32 v13, 16, v31
	v_mul_f16_sdwa v14, v121, v31 dst_sel:DWORD dst_unused:UNUSED_PAD src0_sel:WORD_1 src1_sel:DWORD
	ds_write2_b32 v109, v2, v0 offset0:49 offset1:184
	v_pack_b32_f16 v0, v10, v12
	v_fmac_f16_e32 v8, v122, v27
	v_mul_f16_sdwa v2, v121, v13 dst_sel:DWORD dst_unused:UNUSED_PAD src0_sel:WORD_1 src1_sel:DWORD
	v_fma_f16 v10, v121, v13, -v14
	s_waitcnt vmcnt(4)
	v_lshrrev_b32_e32 v12, 16, v32
	v_mul_f16_sdwa v13, v120, v32 dst_sel:DWORD dst_unused:UNUSED_PAD src0_sel:WORD_1 src1_sel:DWORD
	ds_write2_b32 v143, v1, v0 offset0:70 offset1:205
	v_pack_b32_f16 v0, v8, v11
	s_waitcnt vmcnt(3)
	v_lshrrev_b32_e32 v11, 16, v28
	v_mul_f16_sdwa v1, v120, v12 dst_sel:DWORD dst_unused:UNUSED_PAD src0_sel:WORD_1 src1_sel:DWORD
	v_fma_f16 v8, v120, v12, -v13
	v_mul_f16_sdwa v12, v119, v28 dst_sel:DWORD dst_unused:UNUSED_PAD src0_sel:WORD_1 src1_sel:DWORD
	ds_write2_b32 v163, v3, v0 offset0:91 offset1:226
	s_waitcnt vmcnt(2)
	v_lshrrev_b32_e32 v0, 16, v30
	s_waitcnt vmcnt(1)
	v_lshrrev_b32_e32 v13, 16, v29
	v_mul_f16_sdwa v3, v119, v11 dst_sel:DWORD dst_unused:UNUSED_PAD src0_sel:WORD_1 src1_sel:DWORD
	v_fma_f16 v11, v119, v11, -v12
	v_mul_f16_sdwa v12, v118, v30 dst_sel:DWORD dst_unused:UNUSED_PAD src0_sel:WORD_1 src1_sel:DWORD
	v_mul_f16_sdwa v14, v118, v0 dst_sel:DWORD dst_unused:UNUSED_PAD src0_sel:WORD_1 src1_sel:DWORD
	s_waitcnt vmcnt(0)
	v_mul_f16_sdwa v15, v117, v29 dst_sel:DWORD dst_unused:UNUSED_PAD src0_sel:WORD_1 src1_sel:DWORD
	v_mul_f16_sdwa v16, v117, v13 dst_sel:DWORD dst_unused:UNUSED_PAD src0_sel:WORD_1 src1_sel:DWORD
	v_fmac_f16_e32 v2, v121, v31
	v_fmac_f16_e32 v1, v120, v32
	;; [unrolled: 1-line block ×3, first 2 shown]
	v_fma_f16 v0, v118, v0, -v12
	v_fmac_f16_e32 v14, v118, v30
	v_fma_f16 v12, v117, v13, -v15
	v_fmac_f16_e32 v16, v117, v29
	v_pack_b32_f16 v2, v2, v10
	v_pack_b32_f16 v1, v1, v8
	;; [unrolled: 1-line block ×5, first 2 shown]
	ds_write2_b32 v140, v5, v2 offset0:112 offset1:247
	ds_write2_b32 v110, v4, v1 offset0:5 offset1:140
	;; [unrolled: 1-line block ×5, first 2 shown]
	s_waitcnt lgkmcnt(0)
	s_barrier
	buffer_gl0_inv
	ds_read2_b32 v[0:1], v162 offset0:14 offset1:149
	ds_read2_b32 v[16:17], v160 offset0:56 offset1:191
	;; [unrolled: 1-line block ×9, first 2 shown]
	ds_read2_b32 v[20:21], v153 offset1:135
	ds_read2_b32 v[2:3], v146 offset0:28 offset1:163
	ds_read2_b32 v[8:9], v143 offset0:70 offset1:205
	;; [unrolled: 1-line block ×5, first 2 shown]
	s_waitcnt lgkmcnt(0)
	s_barrier
	buffer_gl0_inv
	v_sub_f16_sdwa v49, v28, v30 dst_sel:DWORD dst_unused:UNUSED_PAD src0_sel:WORD_1 src1_sel:WORD_1
	v_add_f16_sdwa v54, v30, v33 dst_sel:DWORD dst_unused:UNUSED_PAD src0_sel:WORD_1 src1_sel:WORD_1
	v_sub_f16_sdwa v50, v35, v33 dst_sel:DWORD dst_unused:UNUSED_PAD src0_sel:WORD_1 src1_sel:WORD_1
	v_lshrrev_b32_e32 v22, 16, v1
	v_lshrrev_b32_e32 v53, 16, v20
	v_sub_f16_e32 v38, v17, v19
	v_add_f16_e32 v23, v19, v13
	v_add_f16_sdwa v39, v19, v13 dst_sel:DWORD dst_unused:UNUSED_PAD src0_sel:WORD_1 src1_sel:WORD_1
	v_add_f16_sdwa v67, v17, v11 dst_sel:DWORD dst_unused:UNUSED_PAD src0_sel:WORD_1 src1_sel:WORD_1
	v_add_f16_e32 v71, v17, v11
	v_sub_f16_sdwa v27, v17, v11 dst_sel:DWORD dst_unused:UNUSED_PAD src0_sel:WORD_1 src1_sel:WORD_1
	v_sub_f16_sdwa v37, v19, v13 dst_sel:DWORD dst_unused:UNUSED_PAD src0_sel:WORD_1 src1_sel:WORD_1
	v_sub_f16_e32 v40, v11, v13
	v_sub_f16_e32 v41, v17, v11
	;; [unrolled: 1-line block ×3, first 2 shown]
	v_sub_f16_sdwa v43, v17, v19 dst_sel:DWORD dst_unused:UNUSED_PAD src0_sel:WORD_1 src1_sel:WORD_1
	v_sub_f16_sdwa v44, v11, v13 dst_sel:DWORD dst_unused:UNUSED_PAD src0_sel:WORD_1 src1_sel:WORD_1
	v_add_f16_e32 v55, v1, v17
	v_sub_f16_e32 v65, v19, v17
	v_sub_f16_e32 v66, v13, v11
	v_sub_f16_sdwa v68, v19, v17 dst_sel:DWORD dst_unused:UNUSED_PAD src0_sel:WORD_1 src1_sel:WORD_1
	v_fma_f16 v23, -0.5, v23, v1
	v_fma_f16 v39, -0.5, v39, v22
	v_add_f16_sdwa v17, v22, v17 dst_sel:DWORD dst_unused:UNUSED_PAD src0_sel:DWORD src1_sel:WORD_1
	v_fmac_f16_e32 v22, -0.5, v67
	v_fma_f16 v1, -0.5, v71, v1
	v_sub_f16_e32 v47, v28, v30
	v_sub_f16_e32 v48, v35, v33
	v_add_f16_e32 v51, v20, v28
	v_add_f16_e32 v52, v30, v33
	v_sub_f16_sdwa v56, v28, v35 dst_sel:DWORD dst_unused:UNUSED_PAD src0_sel:WORD_1 src1_sel:WORD_1
	v_sub_f16_e32 v58, v28, v35
	v_sub_f16_e32 v60, v30, v28
	;; [unrolled: 1-line block ×3, first 2 shown]
	v_add_f16_sdwa v62, v28, v35 dst_sel:DWORD dst_unused:UNUSED_PAD src0_sel:WORD_1 src1_sel:WORD_1
	v_sub_f16_sdwa v63, v30, v28 dst_sel:DWORD dst_unused:UNUSED_PAD src0_sel:WORD_1 src1_sel:WORD_1
	v_sub_f16_sdwa v64, v33, v35 dst_sel:DWORD dst_unused:UNUSED_PAD src0_sel:WORD_1 src1_sel:WORD_1
	;; [unrolled: 1-line block ×3, first 2 shown]
	v_add_f16_e32 v70, v28, v35
	v_add_f16_e32 v38, v38, v40
	;; [unrolled: 1-line block ×4, first 2 shown]
	v_fma_f16 v49, -0.5, v54, v53
	v_add_f16_sdwa v28, v53, v28 dst_sel:DWORD dst_unused:UNUSED_PAD src0_sel:DWORD src1_sel:WORD_1
	v_add_f16_e32 v54, v65, v66
	v_fmamk_f16 v66, v37, 0xbb9c, v1
	v_fmac_f16_e32 v1, 0x3b9c, v37
	v_fmamk_f16 v67, v42, 0x3b9c, v22
	v_fmac_f16_e32 v22, 0xbb9c, v42
	v_sub_f16_sdwa v57, v30, v33 dst_sel:DWORD dst_unused:UNUSED_PAD src0_sel:WORD_1 src1_sel:WORD_1
	v_sub_f16_e32 v59, v30, v33
	v_lshrrev_b32_e32 v32, 16, v21
	v_add_f16_e32 v43, v47, v48
	v_add_f16_e32 v47, v51, v30
	v_fma_f16 v48, -0.5, v52, v20
	v_add_f16_e32 v50, v55, v19
	v_add_f16_e32 v51, v60, v61
	v_fmac_f16_e32 v53, -0.5, v62
	v_add_f16_e32 v52, v63, v64
	v_add_f16_e32 v55, v68, v69
	v_fma_f16 v60, -0.5, v70, v20
	v_fmamk_f16 v62, v27, 0x3b9c, v23
	v_fmamk_f16 v63, v41, 0xbb9c, v39
	v_add_f16_sdwa v28, v28, v30 dst_sel:DWORD dst_unused:UNUSED_PAD src0_sel:DWORD src1_sel:WORD_1
	v_add_f16_sdwa v17, v17, v19 dst_sel:DWORD dst_unused:UNUSED_PAD src0_sel:DWORD src1_sel:WORD_1
	v_fmac_f16_e32 v23, 0xbb9c, v27
	v_fmac_f16_e32 v39, 0x3b9c, v41
	;; [unrolled: 1-line block ×6, first 2 shown]
	v_add_f16_sdwa v20, v32, v29 dst_sel:DWORD dst_unused:UNUSED_PAD src0_sel:DWORD src1_sel:WORD_1
	v_add_f16_e32 v47, v47, v33
	v_add_f16_e32 v30, v50, v13
	v_fmamk_f16 v64, v57, 0xbb9c, v60
	v_fmac_f16_e32 v60, 0x3b9c, v57
	v_fmamk_f16 v65, v59, 0x3b9c, v53
	v_fmac_f16_e32 v53, 0xbb9c, v59
	v_fmac_f16_e32 v62, 0x38b4, v37
	;; [unrolled: 1-line block ×3, first 2 shown]
	v_add_f16_sdwa v28, v28, v33 dst_sel:DWORD dst_unused:UNUSED_PAD src0_sel:DWORD src1_sel:WORD_1
	v_add_f16_sdwa v13, v17, v13 dst_sel:DWORD dst_unused:UNUSED_PAD src0_sel:DWORD src1_sel:WORD_1
	v_fmac_f16_e32 v23, 0xb8b4, v37
	v_fmac_f16_e32 v39, 0x38b4, v42
	;; [unrolled: 1-line block ×6, first 2 shown]
	v_fmamk_f16 v19, v56, 0x3b9c, v48
	v_fmamk_f16 v50, v58, 0xbb9c, v49
	v_add_f16_sdwa v68, v20, v31 dst_sel:DWORD dst_unused:UNUSED_PAD src0_sel:DWORD src1_sel:WORD_1
	v_add_f16_e32 v20, v47, v35
	v_add_f16_e32 v17, v30, v11
	v_fmac_f16_e32 v64, 0x38b4, v56
	v_fmac_f16_e32 v60, 0xb8b4, v56
	v_fmac_f16_e32 v65, 0xb8b4, v58
	v_fmac_f16_e32 v53, 0x38b4, v58
	v_fmac_f16_e32 v62, 0x34f2, v38
	v_fmac_f16_e32 v63, 0x34f2, v40
	v_add_f16_sdwa v27, v28, v35 dst_sel:DWORD dst_unused:UNUSED_PAD src0_sel:DWORD src1_sel:WORD_1
	v_add_f16_sdwa v11, v13, v11 dst_sel:DWORD dst_unused:UNUSED_PAD src0_sel:DWORD src1_sel:WORD_1
	v_fmac_f16_e32 v23, 0x34f2, v38
	v_fmac_f16_e32 v39, 0x34f2, v40
	v_mul_f16_e32 v33, 0xb4f2, v1
	v_mul_f16_e32 v35, 0xb4f2, v22
	;; [unrolled: 1-line block ×4, first 2 shown]
	v_fmac_f16_e32 v48, 0xbb9c, v56
	v_fmac_f16_e32 v49, 0x3b9c, v58
	;; [unrolled: 1-line block ×4, first 2 shown]
	v_add_f16_e32 v13, v20, v17
	v_fmac_f16_e32 v64, 0x34f2, v51
	v_fmac_f16_e32 v60, 0x34f2, v51
	;; [unrolled: 1-line block ×4, first 2 shown]
	v_sub_f16_e32 v17, v20, v17
	v_mul_f16_e32 v28, 0x3a79, v62
	v_mul_f16_e32 v30, 0xb8b4, v62
	v_add_f16_e32 v20, v27, v11
	v_sub_f16_e32 v11, v27, v11
	v_mul_f16_e32 v41, 0xba79, v39
	v_fmac_f16_e32 v33, 0x3b9c, v22
	v_fmac_f16_e32 v35, 0xbb9c, v1
	;; [unrolled: 1-line block ×8, first 2 shown]
	v_mul_f16_e32 v27, 0xba79, v23
	v_fmac_f16_e32 v28, 0x38b4, v63
	v_fmac_f16_e32 v30, 0x3a79, v63
	v_pack_b32_f16 v37, v13, v20
	v_fmac_f16_e32 v41, 0xb8b4, v23
	v_pack_b32_f16 v20, v17, v11
	v_add_f16_e32 v13, v60, v33
	v_add_f16_e32 v17, v53, v35
	;; [unrolled: 1-line block ×4, first 2 shown]
	v_sub_f16_e32 v33, v60, v33
	v_sub_f16_e32 v35, v53, v35
	v_add_f16_e32 v72, v21, v29
	v_add_f16_e32 v73, v31, v34
	v_fmac_f16_e32 v48, 0x34f2, v43
	v_fmac_f16_e32 v49, 0x34f2, v44
	;; [unrolled: 1-line block ×3, first 2 shown]
	v_add_f16_e32 v1, v19, v28
	v_add_f16_e32 v11, v50, v30
	v_pack_b32_f16 v39, v22, v23
	v_pack_b32_f16 v22, v33, v35
	v_add_f16_e32 v35, v29, v36
	v_add_f16_e32 v61, v72, v31
	v_sub_f16_e32 v19, v19, v28
	v_sub_f16_e32 v28, v64, v38
	;; [unrolled: 1-line block ×4, first 2 shown]
	v_add_f16_e32 v44, v49, v41
	v_sub_f16_e32 v47, v48, v27
	v_sub_f16_e32 v41, v49, v41
	v_pack_b32_f16 v38, v1, v11
	v_pack_b32_f16 v40, v13, v17
	v_sub_f16_sdwa v1, v31, v34 dst_sel:DWORD dst_unused:UNUSED_PAD src0_sel:WORD_1 src1_sel:WORD_1
	v_fma_f16 v11, -0.5, v73, v21
	v_fmac_f16_e32 v21, -0.5, v35
	v_add_f16_e32 v43, v48, v27
	v_pack_b32_f16 v27, v19, v30
	v_pack_b32_f16 v23, v47, v41
	ds_write2_b64 v164, v[37:38], v[39:40] offset1:1
	v_sub_f16_e32 v30, v31, v29
	v_sub_f16_sdwa v17, v29, v36 dst_sel:DWORD dst_unused:UNUSED_PAD src0_sel:WORD_1 src1_sel:WORD_1
	v_add_f16_e32 v39, v61, v34
	v_sub_f16_e32 v41, v34, v36
	v_fmamk_f16 v37, v1, 0xbb9c, v21
	v_fmac_f16_e32 v21, 0x3b9c, v1
	v_sub_f16_e32 v51, v29, v31
	v_add_f16_sdwa v38, v31, v34 dst_sel:DWORD dst_unused:UNUSED_PAD src0_sel:WORD_1 src1_sel:WORD_1
	v_sub_f16_e32 v13, v31, v34
	v_sub_f16_sdwa v52, v29, v31 dst_sel:DWORD dst_unused:UNUSED_PAD src0_sel:WORD_1 src1_sel:WORD_1
	v_sub_f16_sdwa v31, v31, v29 dst_sel:DWORD dst_unused:UNUSED_PAD src0_sel:WORD_1 src1_sel:WORD_1
	v_sub_f16_e32 v33, v29, v36
	v_add_f16_sdwa v29, v29, v36 dst_sel:DWORD dst_unused:UNUSED_PAD src0_sel:WORD_1 src1_sel:WORD_1
	v_add_f16_sdwa v40, v68, v34 dst_sel:DWORD dst_unused:UNUSED_PAD src0_sel:DWORD src1_sel:WORD_1
	v_add_f16_e32 v35, v39, v36
	v_add_f16_e32 v30, v30, v41
	v_fmac_f16_e32 v37, 0x38b4, v17
	v_fmac_f16_e32 v21, 0xb8b4, v17
	v_add_f16_e32 v39, v8, v4
	v_sub_f16_e32 v55, v36, v34
	v_sub_f16_sdwa v56, v36, v34 dst_sel:DWORD dst_unused:UNUSED_PAD src0_sel:WORD_1 src1_sel:WORD_1
	v_sub_f16_sdwa v47, v34, v36 dst_sel:DWORD dst_unused:UNUSED_PAD src0_sel:WORD_1 src1_sel:WORD_1
	v_add_f16_sdwa v34, v40, v36 dst_sel:DWORD dst_unused:UNUSED_PAD src0_sel:DWORD src1_sel:WORD_1
	v_fma_f16 v36, -0.5, v38, v32
	v_fmac_f16_e32 v32, -0.5, v29
	v_fmac_f16_e32 v37, 0x34f2, v30
	v_fmac_f16_e32 v21, 0x34f2, v30
	v_fma_f16 v29, -0.5, v39, v2
	v_lshrrev_b32_e32 v30, 16, v2
	v_add_f16_sdwa v39, v14, v6 dst_sel:DWORD dst_unused:UNUSED_PAD src0_sel:WORD_1 src1_sel:WORD_1
	v_add_f16_sdwa v40, v8, v4 dst_sel:DWORD dst_unused:UNUSED_PAD src0_sel:WORD_1 src1_sel:WORD_1
	v_pack_b32_f16 v28, v28, v42
	v_sub_f16_e32 v42, v14, v6
	v_add_f16_sdwa v57, v30, v8 dst_sel:DWORD dst_unused:UNUSED_PAD src0_sel:DWORD src1_sel:WORD_1
	v_fma_f16 v39, -0.5, v39, v30
	v_fmac_f16_e32 v30, -0.5, v40
	v_pack_b32_f16 v19, v43, v44
	v_sub_f16_sdwa v38, v14, v6 dst_sel:DWORD dst_unused:UNUSED_PAD src0_sel:WORD_1 src1_sel:WORD_1
	v_sub_f16_sdwa v49, v14, v8 dst_sel:DWORD dst_unused:UNUSED_PAD src0_sel:WORD_1 src1_sel:WORD_1
	;; [unrolled: 1-line block ×3, first 2 shown]
	v_fmamk_f16 v58, v42, 0x3b9c, v30
	v_fmac_f16_e32 v30, 0xbb9c, v42
	v_sub_f16_e32 v44, v8, v4
	v_sub_f16_e32 v41, v14, v8
	;; [unrolled: 1-line block ×3, first 2 shown]
	v_fmamk_f16 v50, v38, 0xbb9c, v29
	v_fmac_f16_e32 v29, 0x3b9c, v38
	v_sub_f16_sdwa v43, v8, v4 dst_sel:DWORD dst_unused:UNUSED_PAD src0_sel:WORD_1 src1_sel:WORD_1
	v_add_f16_e32 v49, v49, v53
	v_fmac_f16_e32 v30, 0x38b4, v44
	v_add_f16_e32 v48, v41, v48
	v_fmamk_f16 v40, v13, 0x3b9c, v32
	v_fmac_f16_e32 v29, 0xb8b4, v43
	v_fmac_f16_e32 v32, 0xbb9c, v13
	;; [unrolled: 1-line block ×6, first 2 shown]
	v_add_f16_e32 v31, v31, v47
	v_mul_f16_e32 v41, 0xb4f2, v30
	v_fmac_f16_e32 v40, 0xb8b4, v33
	v_fmac_f16_e32 v32, 0x38b4, v33
	v_mul_f16_e32 v54, 0xb4f2, v29
	v_fmac_f16_e32 v58, 0x34f2, v49
	v_fmac_f16_e32 v41, 0xbb9c, v29
	v_add_f16_e32 v29, v14, v6
	v_fmac_f16_e32 v50, 0x34f2, v48
	v_fmac_f16_e32 v32, 0x34f2, v31
	v_mul_f16_e32 v47, 0x3b9c, v58
	v_fmac_f16_e32 v40, 0x34f2, v31
	v_fma_f16 v49, -0.5, v29, v2
	v_sub_f16_e32 v29, v8, v14
	v_sub_f16_e32 v31, v4, v6
	v_mul_f16_e32 v48, 0xbb9c, v50
	v_fmac_f16_e32 v47, 0x34f2, v50
	v_fmac_f16_e32 v54, 0x3b9c, v30
	v_sub_f16_sdwa v59, v8, v14 dst_sel:DWORD dst_unused:UNUSED_PAD src0_sel:WORD_1 src1_sel:WORD_1
	v_add_f16_e32 v50, v29, v31
	v_add_f16_e32 v31, v2, v8
	v_fmac_f16_e32 v48, 0x34f2, v58
	v_fmamk_f16 v58, v43, 0x3b9c, v49
	v_add_f16_e32 v30, v21, v54
	v_add_f16_e32 v53, v32, v41
	;; [unrolled: 1-line block ×3, first 2 shown]
	v_add_f16_sdwa v14, v57, v14 dst_sel:DWORD dst_unused:UNUSED_PAD src0_sel:DWORD src1_sel:WORD_1
	v_sub_f16_sdwa v60, v4, v6 dst_sel:DWORD dst_unused:UNUSED_PAD src0_sel:WORD_1 src1_sel:WORD_1
	v_fmamk_f16 v61, v44, 0xbb9c, v39
	v_fmac_f16_e32 v58, 0x38b4, v38
	v_add_f16_e32 v29, v37, v47
	v_add_f16_e32 v31, v31, v6
	v_add_f16_sdwa v57, v14, v6 dst_sel:DWORD dst_unused:UNUSED_PAD src0_sel:DWORD src1_sel:WORD_1
	v_add_f16_e32 v14, v40, v48
	v_pack_b32_f16 v30, v30, v53
	v_add_f16_e32 v53, v59, v60
	v_fmac_f16_e32 v61, 0xb8b4, v42
	v_fmac_f16_e32 v58, 0x34f2, v50
	v_add_f16_e32 v52, v52, v56
	v_fmamk_f16 v56, v17, 0x3b9c, v11
	v_fmamk_f16 v8, v33, 0xbb9c, v36
	v_add_f16_e32 v6, v31, v4
	v_add_f16_sdwa v4, v57, v4 dst_sel:DWORD dst_unused:UNUSED_PAD src0_sel:DWORD src1_sel:WORD_1
	v_pack_b32_f16 v29, v29, v14
	v_lshrrev_b32_e32 v14, 16, v0
	v_fmac_f16_e32 v49, 0xbb9c, v43
	v_fmac_f16_e32 v39, 0x3b9c, v44
	v_add_f16_e32 v51, v51, v55
	v_fmac_f16_e32 v61, 0x34f2, v53
	v_mul_f16_e32 v55, 0x3a79, v58
	v_mul_f16_e32 v2, 0xb8b4, v58
	v_fmac_f16_e32 v56, 0x38b4, v1
	v_fmac_f16_e32 v8, 0xb8b4, v13
	v_add_f16_e32 v58, v35, v6
	v_add_f16_e32 v60, v34, v4
	ds_write2_b64 v164, v[19:20], v[27:28] offset0:2 offset1:3
	v_add_f16_e32 v19, v0, v16
	v_add_f16_sdwa v20, v14, v16 dst_sel:DWORD dst_unused:UNUSED_PAD src0_sel:DWORD src1_sel:WORD_1
	v_fmac_f16_e32 v49, 0xb8b4, v38
	v_fmac_f16_e32 v39, 0x38b4, v42
	;; [unrolled: 1-line block ×6, first 2 shown]
	v_add_co_u32 v31, s0, 0x87, v148
	v_pack_b32_f16 v58, v58, v60
	v_add_f16_e32 v19, v19, v18
	v_add_f16_sdwa v20, v20, v18 dst_sel:DWORD dst_unused:UNUSED_PAD src0_sel:DWORD src1_sel:WORD_1
	v_lshrrev_b32_e32 v60, 16, v3
	v_fmac_f16_e32 v11, 0xbb9c, v17
	v_fmac_f16_e32 v36, 0x3b9c, v33
	;; [unrolled: 1-line block ×4, first 2 shown]
	v_add_f16_e32 v57, v56, v55
	v_add_f16_e32 v59, v8, v2
	v_mul_u32_u24_e32 v62, 10, v31
	v_add_f16_e32 v19, v19, v12
	v_add_f16_sdwa v20, v20, v12 dst_sel:DWORD dst_unused:UNUSED_PAD src0_sel:DWORD src1_sel:WORD_1
	v_add_f16_e32 v65, v3, v9
	v_add_f16_sdwa v66, v60, v9 dst_sel:DWORD dst_unused:UNUSED_PAD src0_sel:DWORD src1_sel:WORD_1
	v_fmac_f16_e32 v11, 0xb8b4, v1
	v_fmac_f16_e32 v36, 0x38b4, v13
	v_mul_f16_e32 v13, 0xba79, v49
	v_mul_f16_e32 v17, 0xba79, v39
	v_pack_b32_f16 v59, v57, v59
	v_lshlrev_b32_e32 v196, 2, v62
	ds_write_b64 v164, v[22:23] offset:32
	ds_write2_b64 v196, v[58:59], v[29:30] offset1:1
	v_sub_f16_e32 v21, v21, v54
	v_add_f16_e32 v22, v18, v12
	v_sub_f16_sdwa v23, v18, v12 dst_sel:DWORD dst_unused:UNUSED_PAD src0_sel:WORD_1 src1_sel:WORD_1
	v_sub_f16_e32 v27, v16, v18
	v_sub_f16_e32 v28, v18, v16
	v_add_f16_sdwa v29, v18, v12 dst_sel:DWORD dst_unused:UNUSED_PAD src0_sel:WORD_1 src1_sel:WORD_1
	v_sub_f16_e32 v30, v18, v12
	v_sub_f16_sdwa v54, v16, v18 dst_sel:DWORD dst_unused:UNUSED_PAD src0_sel:WORD_1 src1_sel:WORD_1
	v_sub_f16_sdwa v18, v18, v16 dst_sel:DWORD dst_unused:UNUSED_PAD src0_sel:WORD_1 src1_sel:WORD_1
	;; [unrolled: 1-line block ×3, first 2 shown]
	v_add_f16_e32 v58, v16, v10
	v_sub_f16_e32 v59, v16, v10
	v_add_f16_sdwa v16, v16, v10 dst_sel:DWORD dst_unused:UNUSED_PAD src0_sel:WORD_1 src1_sel:WORD_1
	v_sub_f16_e32 v62, v10, v12
	v_sub_f16_e32 v63, v12, v10
	v_sub_f16_sdwa v64, v10, v12 dst_sel:DWORD dst_unused:UNUSED_PAD src0_sel:WORD_1 src1_sel:WORD_1
	v_sub_f16_sdwa v12, v12, v10 dst_sel:DWORD dst_unused:UNUSED_PAD src0_sel:WORD_1 src1_sel:WORD_1
	v_add_f16_e32 v19, v19, v10
	v_add_f16_sdwa v10, v20, v10 dst_sel:DWORD dst_unused:UNUSED_PAD src0_sel:DWORD src1_sel:WORD_1
	v_add_f16_e32 v20, v65, v15
	v_add_f16_sdwa v65, v66, v15 dst_sel:DWORD dst_unused:UNUSED_PAD src0_sel:DWORD src1_sel:WORD_1
	v_fmac_f16_e32 v11, 0x34f2, v51
	v_fmac_f16_e32 v36, 0x34f2, v52
	;; [unrolled: 1-line block ×4, first 2 shown]
	v_add_f16_e32 v20, v20, v7
	v_add_f16_sdwa v65, v65, v7 dst_sel:DWORD dst_unused:UNUSED_PAD src0_sel:DWORD src1_sel:WORD_1
	v_sub_f16_e32 v1, v8, v2
	v_sub_f16_e32 v6, v35, v6
	v_add_f16_e32 v8, v11, v13
	v_add_f16_e32 v35, v36, v17
	v_fma_f16 v22, -0.5, v22, v0
	v_add_f16_e32 v66, v15, v7
	v_sub_f16_sdwa v67, v15, v7 dst_sel:DWORD dst_unused:UNUSED_PAD src0_sel:WORD_1 src1_sel:WORD_1
	v_sub_f16_e32 v68, v9, v15
	v_sub_f16_e32 v69, v15, v9
	v_add_f16_sdwa v70, v15, v7 dst_sel:DWORD dst_unused:UNUSED_PAD src0_sel:WORD_1 src1_sel:WORD_1
	v_sub_f16_e32 v71, v15, v7
	v_sub_f16_sdwa v72, v9, v15 dst_sel:DWORD dst_unused:UNUSED_PAD src0_sel:WORD_1 src1_sel:WORD_1
	v_sub_f16_sdwa v15, v15, v9 dst_sel:DWORD dst_unused:UNUSED_PAD src0_sel:WORD_1 src1_sel:WORD_1
	;; [unrolled: 1-line block ×3, first 2 shown]
	v_add_f16_e32 v74, v9, v5
	v_sub_f16_e32 v75, v9, v5
	v_add_f16_sdwa v9, v9, v5 dst_sel:DWORD dst_unused:UNUSED_PAD src0_sel:WORD_1 src1_sel:WORD_1
	v_sub_f16_e32 v76, v5, v7
	v_sub_f16_e32 v77, v7, v5
	v_sub_f16_sdwa v43, v5, v7 dst_sel:DWORD dst_unused:UNUSED_PAD src0_sel:WORD_1 src1_sel:WORD_1
	v_sub_f16_sdwa v7, v7, v5 dst_sel:DWORD dst_unused:UNUSED_PAD src0_sel:WORD_1 src1_sel:WORD_1
	v_add_f16_e32 v20, v20, v5
	v_add_f16_sdwa v38, v65, v5 dst_sel:DWORD dst_unused:UNUSED_PAD src0_sel:DWORD src1_sel:WORD_1
	v_sub_f16_e32 v5, v56, v55
	v_sub_f16_e32 v34, v34, v4
	v_pack_b32_f16 v4, v8, v35
	v_fmamk_f16 v8, v57, 0x3b9c, v22
	v_fmac_f16_e32 v22, 0xbb9c, v57
	v_pack_b32_f16 v1, v5, v1
	v_pack_b32_f16 v5, v6, v34
	v_sub_f16_e32 v6, v11, v13
	v_fmac_f16_e32 v0, -0.5, v58
	v_add_f16_e32 v13, v27, v62
	v_fmac_f16_e32 v8, 0x38b4, v23
	v_fmac_f16_e32 v22, 0xb8b4, v23
	v_add_f16_e32 v12, v18, v12
	v_fmamk_f16 v27, v23, 0xbb9c, v0
	v_fmac_f16_e32 v0, 0x3b9c, v23
	v_fmac_f16_e32 v8, 0x34f2, v13
	;; [unrolled: 1-line block ×3, first 2 shown]
	v_fma_f16 v13, -0.5, v29, v14
	v_add_f16_e32 v23, v28, v63
	v_fmac_f16_e32 v27, 0x38b4, v57
	v_fmac_f16_e32 v14, -0.5, v16
	v_fmac_f16_e32 v0, 0xb8b4, v57
	v_fmamk_f16 v16, v59, 0xbb9c, v13
	v_fmac_f16_e32 v13, 0x3b9c, v59
	v_fma_f16 v18, -0.5, v66, v3
	v_add_f16_e32 v28, v54, v64
	v_fmac_f16_e32 v27, 0x34f2, v23
	v_fmac_f16_e32 v16, 0xb8b4, v30
	;; [unrolled: 1-line block ×4, first 2 shown]
	v_fmamk_f16 v23, v73, 0x3b9c, v18
	v_fmac_f16_e32 v18, 0xbb9c, v73
	v_fmamk_f16 v29, v30, 0x3b9c, v14
	v_fmac_f16_e32 v14, 0xbb9c, v30
	v_fmac_f16_e32 v16, 0x34f2, v28
	;; [unrolled: 1-line block ×3, first 2 shown]
	v_add_f16_e32 v28, v68, v76
	v_fmac_f16_e32 v23, 0x38b4, v67
	v_fmac_f16_e32 v18, 0xb8b4, v67
	v_sub_f16_e32 v33, v37, v47
	v_sub_f16_e32 v2, v40, v48
	v_fmac_f16_e32 v29, 0xb8b4, v59
	v_fmac_f16_e32 v14, 0x38b4, v59
	v_fmac_f16_e32 v3, -0.5, v74
	v_fmac_f16_e32 v23, 0x34f2, v28
	v_fmac_f16_e32 v18, 0x34f2, v28
	v_fma_f16 v28, -0.5, v70, v60
	v_fmac_f16_e32 v60, -0.5, v9
	v_pack_b32_f16 v2, v33, v2
	v_fmac_f16_e32 v29, 0x34f2, v12
	v_fmac_f16_e32 v14, 0x34f2, v12
	v_fmamk_f16 v12, v67, 0xbb9c, v3
	v_fmac_f16_e32 v3, 0x3b9c, v67
	v_fmamk_f16 v33, v71, 0x3b9c, v60
	v_fmac_f16_e32 v60, 0xbb9c, v71
	v_add_f16_e32 v30, v69, v77
	v_add_f16_e32 v7, v15, v7
	v_fmac_f16_e32 v3, 0xb8b4, v73
	v_fmac_f16_e32 v33, 0xb8b4, v75
	;; [unrolled: 1-line block ×4, first 2 shown]
	v_fmamk_f16 v9, v75, 0xbb9c, v28
	v_fmac_f16_e32 v3, 0x34f2, v30
	v_fmac_f16_e32 v28, 0x3b9c, v75
	v_fmac_f16_e32 v60, 0x34f2, v7
	v_fmac_f16_e32 v33, 0x34f2, v7
	ds_write2_b64 v196, v[4:5], v[1:2] offset0:2 offset1:3
	v_mul_f16_e32 v1, 0xb4f2, v3
	v_sub_f16_e32 v11, v32, v41
	v_mul_f16_e32 v4, 0xb4f2, v60
	v_add_f16_e32 v32, v72, v43
	v_fmac_f16_e32 v9, 0xb8b4, v71
	v_fmac_f16_e32 v28, 0x38b4, v71
	;; [unrolled: 1-line block ×5, first 2 shown]
	v_mul_f16_e32 v3, 0x3b9c, v33
	v_fmac_f16_e32 v9, 0x34f2, v32
	v_fmac_f16_e32 v28, 0x34f2, v32
	v_mul_f16_e32 v2, 0x3a79, v23
	v_add_f16_e32 v5, v0, v1
	v_sub_f16_e32 v15, v0, v1
	v_mul_f16_e32 v0, 0xba79, v18
	v_mul_f16_e32 v1, 0xb8b4, v23
	v_fmac_f16_e32 v3, 0x34f2, v12
	v_mul_f16_e32 v12, 0xbb9c, v12
	v_fmac_f16_e32 v2, 0x38b4, v9
	v_fmac_f16_e32 v0, 0x38b4, v28
	v_mul_f16_e32 v23, 0xba79, v28
	v_fmac_f16_e32 v1, 0x3a79, v9
	v_add_f16_e32 v9, v27, v3
	v_fmac_f16_e32 v12, 0x34f2, v33
	v_sub_f16_e32 v33, v27, v3
	v_and_b32_e32 v27, 0xff, v45
	v_add_f16_e32 v28, v22, v0
	v_fmac_f16_e32 v23, 0xb8b4, v18
	v_sub_f16_e32 v22, v22, v0
	v_sub_f16_e32 v17, v36, v17
	v_mul_lo_u16 v0, 0xcd, v27
	v_add_f16_e32 v7, v19, v20
	v_add_f16_e32 v35, v13, v23
	v_sub_f16_e32 v23, v13, v23
	v_add_f16_e32 v30, v8, v2
	v_lshrrev_b16 v13, 11, v0
	v_sub_f16_e32 v19, v19, v20
	v_add_f16_e32 v20, v16, v1
	v_sub_f16_e32 v8, v8, v2
	v_sub_f16_e32 v16, v16, v1
	v_pack_b32_f16 v0, v21, v11
	v_mul_lo_u16 v11, v13, 10
	v_add_co_u32 v32, null, 0x10e, v148
	v_add_f16_e32 v18, v10, v38
	v_add_f16_e32 v2, v29, v12
	v_sub_f16_e32 v12, v29, v12
	v_pack_b32_f16 v1, v6, v17
	v_pack_b32_f16 v6, v8, v16
	v_sub_nc_u16 v16, v45, v11
	v_add_f16_e32 v34, v14, v4
	v_mul_u32_u24_e32 v3, 10, v32
	v_sub_f16_e32 v10, v10, v38
	v_sub_f16_e32 v14, v14, v4
	v_pack_b32_f16 v4, v9, v2
	v_pack_b32_f16 v2, v7, v18
	;; [unrolled: 1-line block ×3, first 2 shown]
	v_and_b32_e32 v12, 0xff, v16
	v_lshlrev_b32_e32 v202, 2, v3
	v_pack_b32_f16 v3, v30, v20
	v_pack_b32_f16 v5, v5, v34
	;; [unrolled: 1-line block ×6, first 2 shown]
	ds_write_b64 v196, v[0:1] offset:32
	ds_write2_b64 v202, v[2:3], v[4:5] offset1:1
	ds_write2_b64 v202, v[8:9], v[6:7] offset0:2 offset1:3
	v_lshlrev_b32_e32 v0, 4, v12
	v_add_co_ci_u32_e64 v61, null, 0, 0, s0
	ds_write_b64 v202, v[10:11] offset:32
	s_waitcnt lgkmcnt(0)
	s_barrier
	buffer_gl0_inv
	global_load_dwordx4 v[8:11], v0, s[2:3]
	v_mov_b32_e32 v14, 0xcccd
	v_add_co_u32 v73, s0, 0x195, v148
	v_add_co_u32 v77, null, 0x21c, v148
	v_mul_lo_u16 v27, v27, 41
	v_mul_u32_u24_sdwa v15, v73, v14 dst_sel:DWORD dst_unused:UNUSED_PAD src0_sel:WORD_0 src1_sel:DWORD
	v_add_co_ci_u32_e64 v35, null, 0, 0, s0
	v_lshrrev_b32_e32 v34, 19, v15
	v_mul_lo_u16 v15, v34, 10
	v_sub_nc_u16 v44, v73, v15
	v_lshlrev_b16 v15, 2, v44
	v_mad_u16 v34, v34, 50, v44
	v_lshlrev_b32_sdwa v15, v46, v15 dst_sel:DWORD dst_unused:UNUSED_PAD src0_sel:DWORD src1_sel:WORD_0
	v_lshlrev_b32_sdwa v201, v46, v34 dst_sel:DWORD dst_unused:UNUSED_PAD src0_sel:DWORD src1_sel:WORD_0
	global_load_dwordx4 v[20:23], v15, s[2:3]
	v_mul_u32_u24_sdwa v0, v31, v14 dst_sel:DWORD dst_unused:UNUSED_PAD src0_sel:WORD_0 src1_sel:DWORD
	v_lshrrev_b32_e32 v30, 19, v0
	v_mul_lo_u16 v0, v30, 10
	v_sub_nc_u16 v33, v31, v0
	v_lshlrev_b16 v0, 2, v33
	v_mad_u16 v30, v30, 50, v33
	v_lshlrev_b32_sdwa v0, v46, v0 dst_sel:DWORD dst_unused:UNUSED_PAD src0_sel:DWORD src1_sel:WORD_0
	v_lshlrev_b32_sdwa v199, v46, v30 dst_sel:DWORD dst_unused:UNUSED_PAD src0_sel:DWORD src1_sel:WORD_0
	global_load_dwordx4 v[4:7], v0, s[2:3]
	v_mul_u32_u24_sdwa v0, v32, v14 dst_sel:DWORD dst_unused:UNUSED_PAD src0_sel:WORD_0 src1_sel:DWORD
	v_lshrrev_b32_e32 v28, 19, v0
	v_mul_lo_u16 v0, v28, 10
	v_sub_nc_u16 v29, v32, v0
	v_lshlrev_b16 v0, 2, v29
	v_mad_u16 v28, v28, 50, v29
	v_lshlrev_b32_sdwa v0, v46, v0 dst_sel:DWORD dst_unused:UNUSED_PAD src0_sel:DWORD src1_sel:WORD_0
	v_lshlrev_b32_sdwa v203, v46, v28 dst_sel:DWORD dst_unused:UNUSED_PAD src0_sel:DWORD src1_sel:WORD_0
	global_load_dwordx4 v[0:3], v0, s[2:3]
	ds_read2_b32 v[36:37], v161 offset0:42 offset1:177
	ds_read2_b32 v[38:39], v159 offset0:84 offset1:219
	;; [unrolled: 1-line block ×4, first 2 shown]
	ds_read2_b32 v[47:48], v153 offset1:135
	s_waitcnt lgkmcnt(4)
	v_lshrrev_b32_e32 v15, 16, v36
	s_waitcnt lgkmcnt(3)
	v_lshrrev_b32_e32 v16, 16, v38
	;; [unrolled: 2-line block ×5, first 2 shown]
	s_waitcnt vmcnt(3)
	v_mul_f16_sdwa v70, v36, v8 dst_sel:DWORD dst_unused:UNUSED_PAD src0_sel:DWORD src1_sel:WORD_1
	v_mul_f16_sdwa v71, v38, v9 dst_sel:DWORD dst_unused:UNUSED_PAD src0_sel:DWORD src1_sel:WORD_1
	;; [unrolled: 1-line block ×7, first 2 shown]
	v_fma_f16 v36, v36, v8, -v18
	v_fma_f16 v38, v38, v9, -v49
	v_fmac_f16_e32 v70, v15, v8
	v_fma_f16 v15, v40, v10, -v50
	v_fma_f16 v40, v42, v11, -v51
	v_mul_f16_sdwa v42, v42, v11 dst_sel:DWORD dst_unused:UNUSED_PAD src0_sel:DWORD src1_sel:WORD_1
	v_fmac_f16_e32 v71, v16, v9
	v_mul_u32_u24_sdwa v16, v77, v14 dst_sel:DWORD dst_unused:UNUSED_PAD src0_sel:WORD_0 src1_sel:DWORD
	v_sub_f16_e32 v18, v36, v38
	v_sub_f16_e32 v49, v40, v15
	v_fmac_f16_e32 v72, v17, v10
	v_fmac_f16_e32 v42, v19, v11
	v_mov_b32_e32 v17, 50
	v_lshrrev_b32_e32 v76, 19, v16
	v_add_f16_e32 v74, v18, v49
	v_sub_f16_e32 v18, v70, v71
	v_sub_f16_e32 v16, v42, v72
	v_mul_u32_u24_sdwa v13, v13, v17 dst_sel:DWORD dst_unused:UNUSED_PAD src0_sel:WORD_0 src1_sel:DWORD
	v_mul_lo_u16 v17, v76, 10
	v_add_f16_e32 v19, v47, v36
	v_sub_f16_e32 v82, v70, v42
	v_add_f16_e32 v78, v18, v16
	v_add_f16_e32 v16, v38, v15
	v_sub_nc_u16 v80, v77, v17
	v_add_f16_e32 v17, v71, v72
	v_add_f16_e32 v50, v19, v38
	v_mul_u32_u24_sdwa v14, v79, v14 dst_sel:DWORD dst_unused:UNUSED_PAD src0_sel:WORD_0 src1_sel:DWORD
	v_fma_f16 v81, -0.5, v16, v47
	v_lshlrev_b16 v16, 2, v80
	v_fma_f16 v83, -0.5, v17, v75
	v_sub_f16_e32 v84, v36, v40
	v_lshrrev_b32_e32 v85, 19, v14
	v_fmamk_f16 v51, v82, 0x3b9c, v81
	v_lshlrev_b32_sdwa v16, v46, v16 dst_sel:DWORD dst_unused:UNUSED_PAD src0_sel:DWORD src1_sel:WORD_0
	v_sub_f16_e32 v86, v71, v72
	v_fmamk_f16 v14, v84, 0xbb9c, v83
	v_sub_f16_e32 v87, v38, v15
	v_add_f16_e32 v49, v75, v70
	global_load_dwordx4 v[16:19], v16, s[2:3]
	v_mul_lo_u16 v52, v85, 10
	v_fmac_f16_e32 v51, 0x38b4, v86
	v_fmac_f16_e32 v14, 0xb8b4, v87
	v_add_f16_e32 v49, v49, v71
	v_add_f16_e32 v50, v50, v15
	v_sub_nc_u16 v88, v79, v52
	v_fmac_f16_e32 v51, 0x34f2, v74
	v_fmac_f16_e32 v14, 0x34f2, v78
	v_add_f16_e32 v49, v49, v72
	v_add_lshl_u32 v200, v13, v12, 2
	v_lshlrev_b16 v52, 2, v88
	v_add_f16_e32 v13, v36, v40
	v_pack_b32_f16 v90, v51, v14
	v_sub_f16_e32 v14, v38, v36
	v_add_f16_e32 v36, v70, v42
	v_sub_f16_e32 v15, v15, v40
	v_add_f16_e32 v50, v50, v40
	v_add_f16_e32 v49, v49, v42
	v_lshlrev_b32_sdwa v12, v46, v52 dst_sel:DWORD dst_unused:UNUSED_PAD src0_sel:DWORD src1_sel:WORD_0
	v_fma_f16 v38, -0.5, v13, v47
	v_fmac_f16_e32 v75, -0.5, v36
	v_add_f16_e32 v36, v14, v15
	v_sub_f16_e32 v13, v71, v70
	v_sub_f16_e32 v14, v72, v42
	v_pack_b32_f16 v89, v50, v49
	ds_read2_b32 v[49:50], v162 offset0:14 offset1:149
	ds_read2_b32 v[51:52], v160 offset0:56 offset1:191
	;; [unrolled: 1-line block ×8, first 2 shown]
	v_fmamk_f16 v40, v86, 0xbb9c, v38
	v_fmamk_f16 v42, v87, 0x3b9c, v75
	v_add_f16_e32 v47, v13, v14
	global_load_dwordx4 v[12:15], v12, s[2:3]
	v_fmac_f16_e32 v38, 0x3b9c, v86
	v_fmac_f16_e32 v75, 0xbb9c, v87
	;; [unrolled: 1-line block ×4, first 2 shown]
	ds_read2_b32 v[66:67], v137 offset0:26 offset1:161
	v_fmac_f16_e32 v38, 0xb8b4, v82
	v_fmac_f16_e32 v75, 0x38b4, v84
	;; [unrolled: 1-line block ×4, first 2 shown]
	ds_read2_b32 v[68:69], v134 offset0:68 offset1:203
	v_fmac_f16_e32 v38, 0x34f2, v36
	v_fmac_f16_e32 v75, 0x34f2, v47
	s_waitcnt vmcnt(0) lgkmcnt(0)
	v_pack_b32_f16 v36, v40, v42
	v_lshrrev_b32_e32 v40, 16, v37
	v_lshrrev_b32_e32 v42, 16, v39
	v_pack_b32_f16 v38, v38, v75
	s_barrier
	buffer_gl0_inv
	v_mul_f16_sdwa v47, v40, v4 dst_sel:DWORD dst_unused:UNUSED_PAD src0_sel:DWORD src1_sel:WORD_1
	v_mul_f16_sdwa v70, v42, v5 dst_sel:DWORD dst_unused:UNUSED_PAD src0_sel:DWORD src1_sel:WORD_1
	ds_write2_b32 v200, v36, v38 offset0:20 offset1:30
	v_lshrrev_b32_e32 v36, 16, v41
	v_mul_f16_sdwa v38, v37, v4 dst_sel:DWORD dst_unused:UNUSED_PAD src0_sel:DWORD src1_sel:WORD_1
	v_fma_f16 v37, v37, v4, -v47
	v_lshrrev_b32_e32 v47, 16, v43
	v_fmac_f16_e32 v81, 0xbb9c, v82
	v_mul_f16_sdwa v71, v36, v6 dst_sel:DWORD dst_unused:UNUSED_PAD src0_sel:DWORD src1_sel:WORD_1
	v_fmac_f16_e32 v38, v40, v4
	v_fma_f16 v40, v39, v5, -v70
	v_mul_f16_sdwa v70, v47, v7 dst_sel:DWORD dst_unused:UNUSED_PAD src0_sel:DWORD src1_sel:WORD_1
	v_fmac_f16_e32 v83, 0x3b9c, v84
	v_mul_f16_sdwa v39, v39, v5 dst_sel:DWORD dst_unused:UNUSED_PAD src0_sel:DWORD src1_sel:WORD_1
	v_fma_f16 v71, v41, v6, -v71
	v_mul_f16_sdwa v41, v41, v6 dst_sel:DWORD dst_unused:UNUSED_PAD src0_sel:DWORD src1_sel:WORD_1
	v_fma_f16 v70, v43, v7, -v70
	v_mul_f16_sdwa v43, v43, v7 dst_sel:DWORD dst_unused:UNUSED_PAD src0_sel:DWORD src1_sel:WORD_1
	v_fmac_f16_e32 v81, 0xb8b4, v86
	v_fmac_f16_e32 v83, 0x38b4, v87
	;; [unrolled: 1-line block ×7, first 2 shown]
	v_sub_f16_e32 v36, v37, v40
	v_sub_f16_e32 v42, v70, v71
	v_lshrrev_b32_e32 v72, 16, v48
	v_sub_f16_e32 v47, v38, v39
	v_sub_f16_e32 v74, v43, v41
	v_add_f16_e32 v75, v48, v37
	v_add_f16_e32 v36, v36, v42
	v_pack_b32_f16 v42, v81, v83
	v_add_f16_e32 v78, v72, v38
	v_add_f16_e32 v47, v47, v74
	;; [unrolled: 1-line block ×4, first 2 shown]
	ds_write_b32 v200, v42 offset:160
	v_add_f16_e32 v42, v78, v39
	v_add_f16_e32 v78, v39, v41
	;; [unrolled: 1-line block ×3, first 2 shown]
	v_fma_f16 v75, -0.5, v75, v48
	v_sub_f16_e32 v81, v38, v43
	v_add_f16_e32 v42, v42, v41
	v_fma_f16 v78, -0.5, v78, v72
	v_add_f16_e32 v74, v74, v70
	v_sub_f16_e32 v82, v37, v70
	v_sub_f16_e32 v84, v39, v41
	v_add_f16_e32 v42, v42, v43
	v_sub_f16_e32 v87, v40, v71
	v_fmamk_f16 v83, v81, 0x3b9c, v75
	v_fmamk_f16 v86, v82, 0xbb9c, v78
	v_fmac_f16_e32 v75, 0xbb9c, v81
	v_pack_b32_f16 v33, v74, v42
	v_add_f16_e32 v42, v37, v70
	v_add_f16_e32 v74, v38, v43
	v_sub_f16_e32 v37, v40, v37
	v_sub_f16_e32 v40, v71, v70
	;; [unrolled: 1-line block ×3, first 2 shown]
	v_fmac_f16_e32 v48, -0.5, v42
	v_fmac_f16_e32 v72, -0.5, v74
	v_sub_f16_e32 v39, v41, v43
	v_fmac_f16_e32 v83, 0x38b4, v84
	v_fmac_f16_e32 v86, 0xb8b4, v87
	v_fmamk_f16 v41, v84, 0xbb9c, v48
	v_fmac_f16_e32 v48, 0x3b9c, v84
	v_fmamk_f16 v42, v87, 0x3b9c, v72
	v_fmac_f16_e32 v72, 0xbb9c, v87
	v_add_f16_e32 v37, v37, v40
	v_add_f16_e32 v38, v38, v39
	v_fmac_f16_e32 v48, 0xb8b4, v81
	v_fmac_f16_e32 v41, 0x38b4, v81
	;; [unrolled: 1-line block ×10, first 2 shown]
	v_pack_b32_f16 v39, v83, v86
	v_fmac_f16_e32 v75, 0xb8b4, v84
	v_pack_b32_f16 v30, v48, v72
	ds_write2_b32 v200, v89, v90 offset1:10
	v_pack_b32_f16 v37, v41, v42
	v_lshrrev_b32_e32 v38, 16, v51
	v_mul_f16_sdwa v40, v51, v0 dst_sel:DWORD dst_unused:UNUSED_PAD src0_sel:DWORD src1_sel:WORD_1
	ds_write2_b32 v199, v33, v39 offset1:10
	ds_write2_b32 v199, v37, v30 offset0:20 offset1:30
	v_fmac_f16_e32 v75, 0x34f2, v36
	v_lshrrev_b32_e32 v30, 16, v53
	v_lshrrev_b32_e32 v33, 16, v55
	;; [unrolled: 1-line block ×3, first 2 shown]
	v_fmac_f16_e32 v78, 0x3b9c, v82
	v_fmac_f16_e32 v40, v38, v0
	v_mul_f16_sdwa v37, v53, v1 dst_sel:DWORD dst_unused:UNUSED_PAD src0_sel:DWORD src1_sel:WORD_1
	v_mul_f16_sdwa v38, v38, v0 dst_sel:DWORD dst_unused:UNUSED_PAD src0_sel:DWORD src1_sel:WORD_1
	;; [unrolled: 1-line block ×5, first 2 shown]
	v_fmac_f16_e32 v78, 0x38b4, v87
	v_fmac_f16_e32 v37, v30, v1
	v_fma_f16 v30, v51, v0, -v38
	v_fma_f16 v38, v53, v1, -v39
	;; [unrolled: 1-line block ×4, first 2 shown]
	v_lshrrev_b32_e32 v43, 16, v49
	v_fmac_f16_e32 v78, 0x34f2, v47
	v_mul_f16_sdwa v42, v55, v2 dst_sel:DWORD dst_unused:UNUSED_PAD src0_sel:DWORD src1_sel:WORD_1
	v_mul_f16_sdwa v47, v57, v3 dst_sel:DWORD dst_unused:UNUSED_PAD src0_sel:DWORD src1_sel:WORD_1
	v_sub_f16_e32 v48, v30, v38
	v_sub_f16_e32 v51, v41, v39
	v_add_f16_e32 v53, v49, v30
	v_add_f16_e32 v55, v43, v40
	v_fmac_f16_e32 v42, v33, v2
	v_fmac_f16_e32 v47, v36, v3
	v_add_f16_e32 v33, v48, v51
	v_add_f16_e32 v36, v53, v38
	;; [unrolled: 1-line block ×3, first 2 shown]
	v_sub_f16_e32 v55, v40, v37
	v_sub_f16_e32 v70, v47, v42
	v_add_f16_e32 v51, v38, v39
	v_add_f16_e32 v36, v36, v39
	;; [unrolled: 1-line block ×3, first 2 shown]
	v_pack_b32_f16 v53, v75, v78
	v_add_f16_e32 v71, v37, v42
	v_sub_f16_e32 v75, v30, v41
	v_add_f16_e32 v36, v36, v41
	v_add_f16_e32 v48, v48, v47
	;; [unrolled: 1-line block ×4, first 2 shown]
	v_sub_f16_e32 v30, v38, v30
	v_sub_f16_e32 v74, v37, v42
	v_pack_b32_f16 v29, v36, v48
	v_sub_f16_e32 v48, v38, v39
	v_add_f16_e32 v38, v40, v47
	v_fma_f16 v71, -0.5, v71, v43
	v_sub_f16_e32 v39, v39, v41
	v_fma_f16 v41, -0.5, v70, v49
	v_fma_f16 v51, -0.5, v51, v49
	v_fmac_f16_e32 v43, -0.5, v38
	v_sub_f16_e32 v57, v40, v47
	v_add_f16_e32 v30, v30, v39
	v_sub_f16_e32 v37, v37, v40
	v_fmamk_f16 v38, v74, 0xbb9c, v41
	v_sub_f16_e32 v39, v42, v47
	v_fmamk_f16 v40, v48, 0x3b9c, v43
	v_fmac_f16_e32 v41, 0x3b9c, v74
	v_fmac_f16_e32 v43, 0xbb9c, v48
	v_fmamk_f16 v72, v57, 0x3b9c, v51
	v_fmamk_f16 v36, v75, 0xbb9c, v71
	v_fmac_f16_e32 v38, 0x38b4, v57
	v_add_f16_e32 v37, v37, v39
	v_fmac_f16_e32 v40, 0xb8b4, v75
	v_fmac_f16_e32 v41, 0xb8b4, v57
	v_fmac_f16_e32 v43, 0x38b4, v75
	v_fmac_f16_e32 v72, 0x38b4, v74
	v_fmac_f16_e32 v36, 0xb8b4, v48
	v_fmac_f16_e32 v38, 0x34f2, v30
	v_fmac_f16_e32 v40, 0x34f2, v37
	v_fmac_f16_e32 v41, 0x34f2, v30
	v_fmac_f16_e32 v43, 0x34f2, v37
	v_fmac_f16_e32 v72, 0x34f2, v33
	v_fmac_f16_e32 v36, 0x34f2, v55
	v_pack_b32_f16 v28, v38, v40
	v_lshrrev_b32_e32 v39, 16, v58
	v_pack_b32_f16 v37, v41, v43
	v_fmac_f16_e32 v51, 0xbb9c, v57
	v_pack_b32_f16 v30, v72, v36
	v_lshrrev_b32_e32 v36, 16, v52
	ds_write_b32 v199, v53 offset:160
	ds_write2_b32 v203, v29, v30 offset1:10
	v_lshrrev_b32_e32 v29, 16, v54
	ds_write2_b32 v203, v28, v37 offset0:20 offset1:30
	v_lshrrev_b32_e32 v28, 16, v56
	v_mul_f16_sdwa v30, v36, v20 dst_sel:DWORD dst_unused:UNUSED_PAD src0_sel:DWORD src1_sel:WORD_1
	v_mul_f16_sdwa v37, v52, v20 dst_sel:DWORD dst_unused:UNUSED_PAD src0_sel:DWORD src1_sel:WORD_1
	;; [unrolled: 1-line block ×5, first 2 shown]
	v_fmac_f16_e32 v71, 0x3b9c, v75
	v_fma_f16 v30, v52, v20, -v30
	v_fmac_f16_e32 v37, v36, v20
	v_fma_f16 v36, v54, v21, -v38
	v_mul_f16_sdwa v38, v54, v21 dst_sel:DWORD dst_unused:UNUSED_PAD src0_sel:DWORD src1_sel:WORD_1
	v_fma_f16 v40, v56, v22, -v40
	v_mul_f16_sdwa v42, v56, v22 dst_sel:DWORD dst_unused:UNUSED_PAD src0_sel:DWORD src1_sel:WORD_1
	;; [unrolled: 2-line block ×3, first 2 shown]
	v_fmac_f16_e32 v51, 0xb8b4, v74
	v_fmac_f16_e32 v71, 0x38b4, v48
	;; [unrolled: 1-line block ×7, first 2 shown]
	v_sub_f16_e32 v28, v30, v36
	v_sub_f16_e32 v29, v41, v40
	v_lshrrev_b32_e32 v39, 16, v50
	v_sub_f16_e32 v33, v37, v38
	v_sub_f16_e32 v47, v43, v42
	v_add_f16_e32 v48, v50, v30
	v_add_f16_e32 v28, v28, v29
	v_pack_b32_f16 v29, v51, v71
	v_add_f16_e32 v49, v39, v37
	v_add_f16_e32 v33, v33, v47
	;; [unrolled: 1-line block ×4, first 2 shown]
	ds_write_b32 v203, v29 offset:160
	v_add_f16_e32 v29, v49, v38
	v_add_f16_e32 v49, v38, v42
	v_add_f16_e32 v47, v47, v40
	v_add_f16_e32 v44, v30, v41
	v_fma_f16 v48, -0.5, v48, v50
	v_add_f16_e32 v29, v29, v42
	v_fma_f16 v49, -0.5, v49, v39
	v_add_f16_e32 v47, v47, v41
	v_sub_f16_e32 v54, v38, v42
	v_sub_f16_e32 v56, v36, v40
	v_add_f16_e32 v29, v29, v43
	v_fmac_f16_e32 v50, -0.5, v44
	v_sub_f16_e32 v51, v37, v43
	v_sub_f16_e32 v52, v30, v41
	;; [unrolled: 1-line block ×3, first 2 shown]
	v_pack_b32_f16 v29, v47, v29
	v_add_f16_e32 v47, v37, v43
	v_sub_f16_e32 v36, v40, v41
	v_sub_f16_e32 v37, v38, v37
	v_sub_f16_e32 v38, v42, v43
	v_fmamk_f16 v40, v54, 0xbb9c, v50
	v_fmac_f16_e32 v39, -0.5, v47
	v_fmac_f16_e32 v50, 0x3b9c, v54
	v_fmamk_f16 v53, v51, 0x3b9c, v48
	v_add_f16_e32 v30, v30, v36
	v_add_f16_e32 v36, v37, v38
	v_fmamk_f16 v41, v56, 0x3b9c, v39
	v_fmac_f16_e32 v39, 0xbb9c, v56
	v_fmac_f16_e32 v50, 0xb8b4, v51
	;; [unrolled: 1-line block ×12, first 2 shown]
	v_fmamk_f16 v55, v52, 0xbb9c, v49
	v_fmac_f16_e32 v53, 0x34f2, v28
	v_pack_b32_f16 v34, v40, v41
	v_pack_b32_f16 v30, v50, v39
	v_lshrrev_b32_e32 v36, 16, v62
	v_fmac_f16_e32 v48, 0x34f2, v28
	v_lshrrev_b32_e32 v28, 16, v64
	v_lshrrev_b32_e32 v40, 16, v66
	;; [unrolled: 1-line block ×3, first 2 shown]
	v_fmac_f16_e32 v55, 0xb8b4, v56
	v_fmac_f16_e32 v49, 0x3b9c, v52
	v_mad_u16 v54, v76, 50, v80
	v_lshrrev_b16 v74, 1, v73
	v_lshrrev_b16 v75, 1, v77
	v_fmac_f16_e32 v55, 0x34f2, v33
	v_fmac_f16_e32 v49, 0x38b4, v56
	v_lshlrev_b32_sdwa v197, v46, v54 dst_sel:DWORD dst_unused:UNUSED_PAD src0_sel:DWORD src1_sel:WORD_0
	v_lshrrev_b16 v78, 1, v79
	v_add_co_u32 v87, null, 0x32a, v148
	v_pack_b32_f16 v37, v53, v55
	v_mul_f16_sdwa v38, v62, v16 dst_sel:DWORD dst_unused:UNUSED_PAD src0_sel:DWORD src1_sel:WORD_1
	v_mul_f16_sdwa v39, v64, v17 dst_sel:DWORD dst_unused:UNUSED_PAD src0_sel:DWORD src1_sel:WORD_1
	v_mul_f16_sdwa v43, v40, v18 dst_sel:DWORD dst_unused:UNUSED_PAD src0_sel:DWORD src1_sel:WORD_1
	v_mul_f16_sdwa v44, v41, v19 dst_sel:DWORD dst_unused:UNUSED_PAD src0_sel:DWORD src1_sel:WORD_1
	v_mul_f16_sdwa v42, v66, v18 dst_sel:DWORD dst_unused:UNUSED_PAD src0_sel:DWORD src1_sel:WORD_1
	v_fmac_f16_e32 v38, v36, v16
	v_mul_f16_sdwa v36, v36, v16 dst_sel:DWORD dst_unused:UNUSED_PAD src0_sel:DWORD src1_sel:WORD_1
	v_fmac_f16_e32 v39, v28, v17
	v_mul_f16_sdwa v28, v28, v17 dst_sel:DWORD dst_unused:UNUSED_PAD src0_sel:DWORD src1_sel:WORD_1
	v_fma_f16 v43, v66, v18, -v43
	v_fma_f16 v44, v68, v19, -v44
	v_fma_f16 v36, v62, v16, -v36
	v_mul_f16_sdwa v47, v68, v19 dst_sel:DWORD dst_unused:UNUSED_PAD src0_sel:DWORD src1_sel:WORD_1
	v_fma_f16 v28, v64, v17, -v28
	v_fmac_f16_e32 v42, v40, v18
	v_fmac_f16_e32 v49, 0x34f2, v33
	v_sub_f16_e32 v40, v44, v43
	v_fmac_f16_e32 v47, v41, v19
	v_sub_f16_e32 v33, v36, v28
	ds_write2_b32 v201, v29, v37 offset1:10
	ds_write2_b32 v201, v34, v30 offset0:20 offset1:30
	v_pack_b32_f16 v29, v48, v49
	v_sub_f16_e32 v41, v38, v39
	v_sub_f16_e32 v50, v47, v42
	v_add_f16_e32 v30, v33, v40
	v_add_f16_e32 v40, v59, v36
	v_lshrrev_b32_e32 v34, 16, v59
	v_add_f16_e32 v37, v28, v43
	ds_write_b32 v201, v29 offset:160
	v_add_f16_e32 v29, v39, v42
	v_add_f16_e32 v40, v40, v28
	;; [unrolled: 1-line block ×4, first 2 shown]
	v_fma_f16 v37, -0.5, v37, v59
	v_sub_f16_e32 v48, v38, v47
	v_fma_f16 v29, -0.5, v29, v34
	v_sub_f16_e32 v49, v36, v44
	v_sub_f16_e32 v53, v28, v43
	v_add_f16_e32 v40, v40, v43
	v_add_f16_e32 v55, v36, v44
	v_sub_f16_e32 v28, v28, v36
	v_add_f16_e32 v36, v38, v47
	v_add_f16_e32 v41, v41, v39
	v_fmamk_f16 v50, v48, 0x3b9c, v37
	v_sub_f16_e32 v51, v39, v42
	v_fmamk_f16 v52, v49, 0xbb9c, v29
	v_add_f16_e32 v40, v40, v44
	v_sub_f16_e32 v43, v43, v44
	v_fma_f16 v44, -0.5, v55, v59
	v_fmac_f16_e32 v34, -0.5, v36
	v_add_f16_e32 v41, v41, v42
	v_fmac_f16_e32 v50, 0x38b4, v51
	v_fmac_f16_e32 v52, 0xb8b4, v53
	v_fmamk_f16 v36, v51, 0xbb9c, v44
	v_sub_f16_e32 v38, v39, v38
	v_sub_f16_e32 v39, v42, v47
	v_fmamk_f16 v42, v53, 0x3b9c, v34
	v_fmac_f16_e32 v34, 0xbb9c, v53
	v_add_f16_e32 v41, v41, v47
	v_fmac_f16_e32 v50, 0x34f2, v30
	v_fmac_f16_e32 v52, 0x34f2, v33
	v_add_f16_e32 v28, v28, v43
	v_fmac_f16_e32 v44, 0x3b9c, v51
	;; [unrolled: 3-line block ×3, first 2 shown]
	v_fmac_f16_e32 v34, 0x38b4, v49
	v_pack_b32_f16 v40, v40, v41
	v_pack_b32_f16 v41, v50, v52
	v_fmac_f16_e32 v44, 0xb8b4, v48
	v_fmac_f16_e32 v36, 0x34f2, v28
	;; [unrolled: 1-line block ×4, first 2 shown]
	v_lshrrev_b32_e32 v38, 16, v65
	v_fmac_f16_e32 v44, 0x34f2, v28
	v_lshrrev_b32_e32 v28, 16, v63
	ds_write2_b32 v197, v40, v41 offset1:10
	v_pack_b32_f16 v36, v36, v42
	v_mul_f16_sdwa v41, v63, v12 dst_sel:DWORD dst_unused:UNUSED_PAD src0_sel:DWORD src1_sel:WORD_1
	v_mul_f16_sdwa v42, v38, v13 dst_sel:DWORD dst_unused:UNUSED_PAD src0_sel:DWORD src1_sel:WORD_1
	;; [unrolled: 1-line block ×3, first 2 shown]
	v_lshrrev_b32_e32 v40, 16, v67
	v_lshrrev_b32_e32 v43, 16, v69
	v_fmac_f16_e32 v41, v28, v12
	v_fma_f16 v28, v65, v13, -v42
	v_mul_f16_sdwa v42, v65, v13 dst_sel:DWORD dst_unused:UNUSED_PAD src0_sel:DWORD src1_sel:WORD_1
	v_fmac_f16_e32 v37, 0xbb9c, v48
	v_fmac_f16_e32 v29, 0x3b9c, v49
	v_mul_f16_sdwa v48, v67, v14 dst_sel:DWORD dst_unused:UNUSED_PAD src0_sel:DWORD src1_sel:WORD_1
	v_mul_f16_sdwa v49, v69, v15 dst_sel:DWORD dst_unused:UNUSED_PAD src0_sel:DWORD src1_sel:WORD_1
	v_pack_b32_f16 v34, v44, v34
	v_mul_f16_sdwa v44, v40, v14 dst_sel:DWORD dst_unused:UNUSED_PAD src0_sel:DWORD src1_sel:WORD_1
	v_fmac_f16_e32 v37, 0xb8b4, v51
	v_fmac_f16_e32 v29, 0x38b4, v53
	;; [unrolled: 1-line block ×5, first 2 shown]
	v_fma_f16 v39, v63, v12, -v39
	v_mul_f16_sdwa v47, v43, v15 dst_sel:DWORD dst_unused:UNUSED_PAD src0_sel:DWORD src1_sel:WORD_1
	v_fma_f16 v44, v67, v14, -v44
	v_fmac_f16_e32 v37, 0x34f2, v30
	v_fmac_f16_e32 v29, 0x34f2, v33
	v_sub_f16_e32 v33, v41, v42
	v_sub_f16_e32 v40, v49, v48
	ds_write2_b32 v197, v36, v34 offset0:20 offset1:30
	v_lshrrev_b32_e32 v34, 16, v60
	v_fma_f16 v47, v69, v15, -v47
	v_add_f16_e32 v36, v60, v39
	v_pack_b32_f16 v29, v37, v29
	v_add_f16_e32 v33, v33, v40
	v_add_f16_e32 v37, v28, v44
	;; [unrolled: 1-line block ×7, first 2 shown]
	v_sub_f16_e32 v30, v39, v28
	v_fma_f16 v37, -0.5, v37, v60
	v_sub_f16_e32 v50, v41, v49
	v_add_f16_e32 v40, v40, v42
	v_fma_f16 v43, -0.5, v43, v34
	v_sub_f16_e32 v51, v39, v47
	v_sub_f16_e32 v53, v42, v48
	;; [unrolled: 1-line block ×7, first 2 shown]
	v_add_f16_e32 v36, v36, v44
	v_fmac_f16_e32 v60, -0.5, v56
	v_fmac_f16_e32 v34, -0.5, v57
	v_sub_f16_e32 v38, v47, v44
	v_fmamk_f16 v52, v50, 0x3b9c, v37
	v_fmamk_f16 v54, v51, 0xbb9c, v43
	v_add_f16_e32 v28, v28, v39
	v_add_f16_e32 v39, v41, v42
	v_fmac_f16_e32 v37, 0xbb9c, v50
	v_lshrrev_b16 v41, 11, v27
	v_fmac_f16_e32 v43, 0x3b9c, v51
	v_add_f16_e32 v36, v36, v47
	v_fmamk_f16 v44, v53, 0xbb9c, v60
	v_fmac_f16_e32 v60, 0x3b9c, v53
	v_fmamk_f16 v47, v55, 0x3b9c, v34
	v_fmac_f16_e32 v34, 0xbb9c, v55
	v_add_f16_e32 v30, v30, v38
	v_fmac_f16_e32 v37, 0xb8b4, v53
	v_mul_lo_u16 v27, v41, 50
	v_fmac_f16_e32 v43, 0x38b4, v55
	v_add_f16_e32 v40, v40, v48
	v_fmac_f16_e32 v52, 0x38b4, v53
	v_fmac_f16_e32 v54, 0xb8b4, v55
	;; [unrolled: 1-line block ×6, first 2 shown]
	v_mad_u16 v38, v85, 50, v88
	v_fmac_f16_e32 v37, 0x34f2, v30
	v_sub_nc_u16 v27, v45, v27
	v_fmac_f16_e32 v43, 0x34f2, v33
	v_add_f16_e32 v40, v40, v49
	v_fmac_f16_e32 v52, 0x34f2, v30
	v_fmac_f16_e32 v54, 0x34f2, v33
	;; [unrolled: 1-line block ×6, first 2 shown]
	v_lshlrev_b32_sdwa v198, v46, v38 dst_sel:DWORD dst_unused:UNUSED_PAD src0_sel:DWORD src1_sel:WORD_0
	v_and_b32_e32 v38, 0xff, v27
	v_pack_b32_f16 v27, v37, v43
	v_pack_b32_f16 v36, v36, v40
	;; [unrolled: 1-line block ×5, first 2 shown]
	ds_write_b32 v197, v29 offset:160
	ds_write2_b32 v198, v36, v40 offset1:10
	ds_write2_b32 v198, v30, v28 offset0:20 offset1:30
	ds_write_b32 v198, v27 offset:160
	v_lshrrev_b16 v27, 1, v31
	v_mov_b32_e32 v29, 0x147b
	v_lshrrev_b16 v65, 1, v32
	v_lshlrev_b32_e32 v28, 3, v38
	s_waitcnt lgkmcnt(0)
	s_barrier
	v_mul_u32_u24_sdwa v27, v27, v29 dst_sel:DWORD dst_unused:UNUSED_PAD src0_sel:WORD_0 src1_sel:DWORD
	v_mul_u32_u24_sdwa v30, v65, v29 dst_sel:DWORD dst_unused:UNUSED_PAD src0_sel:WORD_0 src1_sel:DWORD
	buffer_gl0_inv
	global_load_dwordx2 v[105:106], v28, s[2:3] offset:160
	v_lshrrev_b16 v90, 1, v87
	v_lshrrev_b32_e32 v44, 17, v27
	v_lshrrev_b32_e32 v66, 17, v30
	v_mul_u32_u24_sdwa v30, v74, v29 dst_sel:DWORD dst_unused:UNUSED_PAD src0_sel:WORD_0 src1_sel:DWORD
	v_add_co_u32 v89, null, 0x3b1, v148
	v_mul_lo_u16 v27, v44, 50
	v_lshrrev_b32_e32 v68, 17, v30
	v_mul_u32_u24_sdwa v30, v75, v29 dst_sel:DWORD dst_unused:UNUSED_PAD src0_sel:WORD_0 src1_sel:DWORD
	v_lshrrev_b16 v112, 1, v89
	v_sub_nc_u16 v64, v31, v27
	v_lshrrev_b32_e32 v70, 17, v30
	v_mul_u32_u24_sdwa v30, v78, v29 dst_sel:DWORD dst_unused:UNUSED_PAD src0_sel:WORD_0 src1_sel:DWORD
	v_lshlrev_b16 v27, 3, v64
	v_lshrrev_b32_e32 v80, 17, v30
	v_and_b32_e32 v27, 0xffff, v27
	v_mul_u32_u24_sdwa v30, v90, v29 dst_sel:DWORD dst_unused:UNUSED_PAD src0_sel:WORD_0 src1_sel:DWORD
	v_add_co_u32 v27, s0, s2, v27
	v_add_co_ci_u32_e64 v28, null, s3, 0, s0
	v_lshrrev_b32_e32 v94, 17, v30
	v_mul_u32_u24_sdwa v30, v112, v29 dst_sel:DWORD dst_unused:UNUSED_PAD src0_sel:WORD_0 src1_sel:DWORD
	global_load_dwordx2 v[103:104], v[27:28], off offset:160
	v_mul_lo_u16 v27, v66, 50
	v_lshrrev_b32_e32 v113, 17, v30
	v_mul_u32_u24_sdwa v30, v115, v29 dst_sel:DWORD dst_unused:UNUSED_PAD src0_sel:WORD_0 src1_sel:DWORD
	v_mul_u32_u24_sdwa v29, v166, v29 dst_sel:DWORD dst_unused:UNUSED_PAD src0_sel:WORD_0 src1_sel:DWORD
	v_sub_nc_u16 v67, v32, v27
	v_lshrrev_b32_e32 v116, 17, v30
	v_lshrrev_b32_e32 v167, 17, v29
	v_lshlrev_b16 v27, 3, v67
	v_and_b32_e32 v27, 0xffff, v27
	v_add_co_u32 v27, s0, s2, v27
	v_add_co_ci_u32_e64 v28, null, s3, 0, s0
	global_load_dwordx2 v[101:102], v[27:28], off offset:160
	v_mul_lo_u16 v27, v68, 50
	v_sub_nc_u16 v69, v73, v27
	v_lshlrev_b16 v27, 3, v69
	v_and_b32_e32 v27, 0xffff, v27
	v_add_co_u32 v27, s0, s2, v27
	v_add_co_ci_u32_e64 v28, null, s3, 0, s0
	global_load_dwordx2 v[99:100], v[27:28], off offset:160
	v_mul_lo_u16 v27, v70, 50
	v_sub_nc_u16 v76, v77, v27
	;; [unrolled: 7-line block ×6, first 2 shown]
	v_lshlrev_b16 v27, 3, v165
	v_and_b32_e32 v27, 0xffff, v27
	v_add_co_u32 v27, s0, s2, v27
	v_add_co_ci_u32_e64 v28, null, s3, 0, s0
	global_load_dwordx2 v[85:86], v[27:28], off offset:160
	v_mul_lo_u16 v27, v167, 50
	ds_read2_b32 v[29:30], v143 offset0:70 offset1:205
	ds_read2_b32 v[33:34], v156 offset0:12 offset1:147
	v_sub_nc_u16 v168, v95, v27
	v_lshlrev_b16 v27, 3, v168
	v_and_b32_e32 v27, 0xffff, v27
	v_add_co_u32 v27, s0, s2, v27
	v_add_co_ci_u32_e64 v28, null, s3, 0, s0
	s_waitcnt lgkmcnt(1)
	v_lshrrev_b32_e32 v36, 16, v29
	s_waitcnt lgkmcnt(0)
	v_lshrrev_b32_e32 v37, 16, v33
	v_lshrrev_b32_e32 v172, 16, v30
	global_load_dwordx2 v[71:72], v[27:28], off offset:160
	ds_read2_b32 v[27:28], v153 offset1:135
	v_lshrrev_b32_e32 v173, 16, v34
	s_waitcnt lgkmcnt(0)
	v_lshrrev_b32_e32 v169, 16, v27
	s_waitcnt vmcnt(9)
	v_mul_f16_sdwa v39, v29, v105 dst_sel:DWORD dst_unused:UNUSED_PAD src0_sel:DWORD src1_sel:WORD_1
	v_mul_f16_sdwa v40, v33, v106 dst_sel:DWORD dst_unused:UNUSED_PAD src0_sel:DWORD src1_sel:WORD_1
	;; [unrolled: 1-line block ×4, first 2 shown]
	v_fmac_f16_e32 v39, v36, v105
	v_fmac_f16_e32 v40, v37, v106
	v_fma_f16 v29, v29, v105, -v42
	v_fma_f16 v33, v33, v106, -v43
	v_add_f16_e32 v37, v169, v39
	v_add_f16_e32 v36, v39, v40
	v_sub_f16_e32 v170, v39, v40
	v_add_f16_e32 v42, v29, v33
	v_add_f16_e32 v39, v27, v29
	v_sub_f16_e32 v29, v29, v33
	v_fmac_f16_e32 v169, -0.5, v36
	v_mov_b32_e32 v36, 0x96
	v_fma_f16 v27, -0.5, v42, v27
	v_add_f16_e32 v37, v37, v40
	v_add_f16_e32 v33, v39, v33
	v_fmamk_f16 v40, v29, 0xbaee, v169
	v_mul_u32_u24_sdwa v36, v41, v36 dst_sel:DWORD dst_unused:UNUSED_PAD src0_sel:WORD_0 src1_sel:DWORD
	v_fmamk_f16 v39, v170, 0x3aee, v27
	v_fmac_f16_e32 v27, 0xbaee, v170
	v_lshrrev_b32_e32 v170, 16, v28
	v_pack_b32_f16 v33, v33, v37
	v_add_lshl_u32 v183, v36, v38, 2
	v_pack_b32_f16 v171, v39, v40
	ds_read2_b32 v[36:37], v162 offset0:14 offset1:149
	ds_read2_b32 v[38:39], v159 offset0:84 offset1:219
	;; [unrolled: 1-line block ×11, first 2 shown]
	v_fmac_f16_e32 v169, 0x3aee, v29
	ds_read2_b32 v[62:63], v134 offset0:68 offset1:203
	s_waitcnt vmcnt(0) lgkmcnt(0)
	s_barrier
	v_mul_f16_sdwa v174, v172, v103 dst_sel:DWORD dst_unused:UNUSED_PAD src0_sel:DWORD src1_sel:WORD_1
	v_mul_f16_sdwa v175, v173, v104 dst_sel:DWORD dst_unused:UNUSED_PAD src0_sel:DWORD src1_sel:WORD_1
	;; [unrolled: 1-line block ×4, first 2 shown]
	v_pack_b32_f16 v27, v27, v169
	v_fma_f16 v30, v30, v103, -v174
	v_fma_f16 v34, v34, v104, -v175
	v_fmac_f16_e32 v176, v172, v103
	v_fmac_f16_e32 v177, v173, v104
	buffer_gl0_inv
	v_add_f16_e32 v173, v28, v30
	v_add_f16_e32 v172, v30, v34
	;; [unrolled: 1-line block ×4, first 2 shown]
	ds_write2_b32 v183, v33, v171 offset1:50
	ds_write_b32 v183, v27 offset:400
	v_mad_u16 v27, 0x96, v44, v64
	v_fmac_f16_e32 v28, -0.5, v172
	v_sub_f16_e32 v172, v176, v177
	v_fmac_f16_e32 v170, -0.5, v29
	v_sub_f16_e32 v29, v30, v34
	v_add_f16_e32 v30, v174, v177
	v_add_f16_e32 v34, v173, v34
	v_fmamk_f16 v169, v172, 0x3aee, v28
	v_lshrrev_b32_e32 v44, 16, v40
	v_fmamk_f16 v173, v29, 0xbaee, v170
	v_fmac_f16_e32 v170, 0x3aee, v29
	v_pack_b32_f16 v30, v34, v30
	v_lshrrev_b32_e32 v34, 16, v38
	v_mul_f16_sdwa v29, v38, v101 dst_sel:DWORD dst_unused:UNUSED_PAD src0_sel:DWORD src1_sel:WORD_1
	v_pack_b32_f16 v33, v169, v173
	v_mul_f16_sdwa v64, v40, v102 dst_sel:DWORD dst_unused:UNUSED_PAD src0_sel:DWORD src1_sel:WORD_1
	v_mul_f16_sdwa v171, v44, v102 dst_sel:DWORD dst_unused:UNUSED_PAD src0_sel:DWORD src1_sel:WORD_1
	;; [unrolled: 1-line block ×3, first 2 shown]
	v_lshlrev_b32_sdwa v191, v46, v27 dst_sel:DWORD dst_unused:UNUSED_PAD src0_sel:DWORD src1_sel:WORD_0
	v_fmac_f16_e32 v29, v34, v101
	v_fmac_f16_e32 v64, v44, v102
	v_fma_f16 v34, v40, v102, -v171
	v_fma_f16 v27, v38, v101, -v169
	v_fmac_f16_e32 v28, 0xbaee, v172
	v_lshrrev_b32_e32 v38, 16, v36
	ds_write2_b32 v191, v30, v33 offset1:50
	v_add_f16_e32 v30, v29, v64
	v_add_f16_e32 v33, v27, v34
	v_pack_b32_f16 v28, v28, v170
	v_add_f16_e32 v40, v38, v29
	v_sub_f16_e32 v29, v29, v64
	v_add_f16_e32 v44, v36, v27
	v_fmac_f16_e32 v38, -0.5, v30
	v_fma_f16 v30, -0.5, v33, v36
	v_sub_f16_e32 v27, v27, v34
	v_add_f16_e32 v33, v40, v64
	v_add_f16_e32 v34, v44, v34
	ds_write_b32 v191, v28 offset:400
	v_fmamk_f16 v28, v29, 0x3aee, v30
	v_fmamk_f16 v36, v27, 0xbaee, v38
	v_lshrrev_b32_e32 v40, 16, v39
	v_lshrrev_b32_e32 v44, 16, v41
	v_mad_u16 v64, 0x96, v66, v67
	v_pack_b32_f16 v33, v34, v33
	v_pack_b32_f16 v28, v28, v36
	v_mul_f16_sdwa v34, v40, v99 dst_sel:DWORD dst_unused:UNUSED_PAD src0_sel:DWORD src1_sel:WORD_1
	v_mul_f16_sdwa v36, v44, v100 dst_sel:DWORD dst_unused:UNUSED_PAD src0_sel:DWORD src1_sel:WORD_1
	;; [unrolled: 1-line block ×4, first 2 shown]
	v_fmac_f16_e32 v30, 0xbaee, v29
	v_fma_f16 v34, v39, v99, -v34
	v_fma_f16 v36, v41, v100, -v36
	v_fmac_f16_e32 v66, v40, v99
	v_fmac_f16_e32 v67, v44, v100
	v_lshrrev_b32_e32 v29, 16, v37
	v_fmac_f16_e32 v38, 0x3aee, v27
	v_add_f16_e32 v39, v34, v36
	v_add_f16_e32 v40, v37, v34
	;; [unrolled: 1-line block ×4, first 2 shown]
	v_lshlrev_b32_sdwa v188, v46, v64 dst_sel:DWORD dst_unused:UNUSED_PAD src0_sel:DWORD src1_sel:WORD_0
	v_fmac_f16_e32 v37, -0.5, v39
	v_sub_f16_e32 v39, v66, v67
	v_fmac_f16_e32 v29, -0.5, v27
	v_sub_f16_e32 v27, v34, v36
	v_add_f16_e32 v34, v41, v67
	v_add_f16_e32 v36, v40, v36
	v_pack_b32_f16 v30, v30, v38
	v_fmamk_f16 v38, v39, 0x3aee, v37
	v_fmamk_f16 v40, v27, 0xbaee, v29
	ds_write2_b32 v188, v33, v28 offset1:50
	ds_write_b32 v188, v30 offset:400
	v_pack_b32_f16 v28, v36, v34
	v_lshrrev_b32_e32 v33, 16, v47
	v_lshrrev_b32_e32 v34, 16, v49
	v_mad_u16 v41, 0x96, v68, v69
	v_pack_b32_f16 v30, v38, v40
	v_fmac_f16_e32 v37, 0xbaee, v39
	v_mul_f16_sdwa v36, v47, v97 dst_sel:DWORD dst_unused:UNUSED_PAD src0_sel:DWORD src1_sel:WORD_1
	v_mul_f16_sdwa v38, v49, v98 dst_sel:DWORD dst_unused:UNUSED_PAD src0_sel:DWORD src1_sel:WORD_1
	;; [unrolled: 1-line block ×4, first 2 shown]
	v_lshlrev_b32_sdwa v187, v46, v41 dst_sel:DWORD dst_unused:UNUSED_PAD src0_sel:DWORD src1_sel:WORD_0
	v_fmac_f16_e32 v29, 0x3aee, v27
	v_fmac_f16_e32 v36, v33, v97
	;; [unrolled: 1-line block ×3, first 2 shown]
	v_fma_f16 v27, v47, v97, -v39
	v_fma_f16 v33, v49, v98, -v40
	v_lshrrev_b32_e32 v34, 16, v42
	ds_write2_b32 v187, v28, v30 offset1:50
	v_pack_b32_f16 v28, v37, v29
	v_add_f16_e32 v29, v36, v38
	v_add_f16_e32 v30, v27, v33
	;; [unrolled: 1-line block ×3, first 2 shown]
	v_sub_f16_e32 v36, v36, v38
	v_add_f16_e32 v39, v42, v27
	v_fmac_f16_e32 v34, -0.5, v29
	v_fma_f16 v29, -0.5, v30, v42
	v_sub_f16_e32 v27, v27, v33
	v_add_f16_e32 v30, v37, v38
	v_add_f16_e32 v33, v39, v33
	ds_write_b32 v187, v28 offset:400
	v_fmamk_f16 v28, v36, 0x3aee, v29
	v_fmamk_f16 v37, v27, 0xbaee, v34
	v_lshrrev_b32_e32 v38, 16, v48
	v_lshrrev_b32_e32 v39, 16, v50
	v_pack_b32_f16 v30, v33, v30
	v_mul_f16_sdwa v41, v48, v91 dst_sel:DWORD dst_unused:UNUSED_PAD src0_sel:DWORD src1_sel:WORD_1
	v_pack_b32_f16 v28, v28, v37
	v_mul_f16_sdwa v33, v38, v91 dst_sel:DWORD dst_unused:UNUSED_PAD src0_sel:DWORD src1_sel:WORD_1
	v_mul_f16_sdwa v37, v39, v92 dst_sel:DWORD dst_unused:UNUSED_PAD src0_sel:DWORD src1_sel:WORD_1
	v_mul_f16_sdwa v42, v50, v92 dst_sel:DWORD dst_unused:UNUSED_PAD src0_sel:DWORD src1_sel:WORD_1
	v_mad_u16 v40, 0x96, v70, v76
	v_fmac_f16_e32 v41, v38, v91
	v_fma_f16 v33, v48, v91, -v33
	v_fma_f16 v37, v50, v92, -v37
	v_fmac_f16_e32 v42, v39, v92
	v_fmac_f16_e32 v29, 0xbaee, v36
	v_lshrrev_b32_e32 v36, 16, v43
	v_lshlrev_b32_sdwa v190, v46, v40 dst_sel:DWORD dst_unused:UNUSED_PAD src0_sel:DWORD src1_sel:WORD_0
	v_add_f16_e32 v38, v33, v37
	v_fmac_f16_e32 v34, 0x3aee, v27
	v_add_f16_e32 v27, v41, v42
	v_add_f16_e32 v39, v43, v33
	;; [unrolled: 1-line block ×3, first 2 shown]
	v_fmac_f16_e32 v43, -0.5, v38
	v_sub_f16_e32 v38, v41, v42
	v_fmac_f16_e32 v36, -0.5, v27
	v_sub_f16_e32 v27, v33, v37
	v_add_f16_e32 v33, v40, v42
	v_pack_b32_f16 v29, v29, v34
	v_add_f16_e32 v34, v39, v37
	v_fmamk_f16 v37, v38, 0x3aee, v43
	v_fmamk_f16 v39, v27, 0xbaee, v36
	ds_write2_b32 v190, v30, v28 offset1:50
	ds_write_b32 v190, v29 offset:400
	v_lshrrev_b32_e32 v30, 16, v53
	v_pack_b32_f16 v28, v34, v33
	v_lshrrev_b32_e32 v33, 16, v55
	v_mad_u16 v40, 0x96, v80, v88
	v_pack_b32_f16 v29, v37, v39
	v_fmac_f16_e32 v43, 0xbaee, v38
	v_mul_f16_sdwa v34, v53, v81 dst_sel:DWORD dst_unused:UNUSED_PAD src0_sel:DWORD src1_sel:WORD_1
	v_mul_f16_sdwa v37, v55, v82 dst_sel:DWORD dst_unused:UNUSED_PAD src0_sel:DWORD src1_sel:WORD_1
	;; [unrolled: 1-line block ×4, first 2 shown]
	v_lshlrev_b32_sdwa v184, v46, v40 dst_sel:DWORD dst_unused:UNUSED_PAD src0_sel:DWORD src1_sel:WORD_0
	v_fmac_f16_e32 v36, 0x3aee, v27
	v_fmac_f16_e32 v34, v30, v81
	;; [unrolled: 1-line block ×3, first 2 shown]
	v_fma_f16 v27, v53, v81, -v38
	v_fma_f16 v30, v55, v82, -v39
	v_lshrrev_b32_e32 v33, 16, v51
	ds_write2_b32 v184, v28, v29 offset1:50
	v_pack_b32_f16 v28, v43, v36
	v_add_f16_e32 v29, v34, v37
	v_add_f16_e32 v36, v27, v30
	;; [unrolled: 1-line block ×3, first 2 shown]
	v_sub_f16_e32 v34, v34, v37
	v_add_f16_e32 v39, v51, v27
	v_fmac_f16_e32 v33, -0.5, v29
	v_fma_f16 v29, -0.5, v36, v51
	v_sub_f16_e32 v27, v27, v30
	v_add_f16_e32 v36, v38, v37
	v_add_f16_e32 v30, v39, v30
	ds_write_b32 v184, v28 offset:400
	v_fmamk_f16 v28, v34, 0x3aee, v29
	v_fmamk_f16 v37, v27, 0xbaee, v33
	v_lshrrev_b32_e32 v38, 16, v54
	v_lshrrev_b32_e32 v39, 16, v56
	v_pack_b32_f16 v30, v30, v36
	v_mul_f16_sdwa v41, v54, v83 dst_sel:DWORD dst_unused:UNUSED_PAD src0_sel:DWORD src1_sel:WORD_1
	v_pack_b32_f16 v28, v28, v37
	v_mul_f16_sdwa v36, v38, v83 dst_sel:DWORD dst_unused:UNUSED_PAD src0_sel:DWORD src1_sel:WORD_1
	v_mul_f16_sdwa v37, v39, v84 dst_sel:DWORD dst_unused:UNUSED_PAD src0_sel:DWORD src1_sel:WORD_1
	;; [unrolled: 1-line block ×3, first 2 shown]
	v_mad_u16 v40, 0x96, v94, v96
	v_fmac_f16_e32 v41, v38, v83
	v_fma_f16 v36, v54, v83, -v36
	v_fma_f16 v37, v56, v84, -v37
	v_fmac_f16_e32 v42, v39, v84
	v_fmac_f16_e32 v29, 0xbaee, v34
	v_lshrrev_b32_e32 v34, 16, v52
	v_lshlrev_b32_sdwa v189, v46, v40 dst_sel:DWORD dst_unused:UNUSED_PAD src0_sel:DWORD src1_sel:WORD_0
	v_add_f16_e32 v38, v36, v37
	v_fmac_f16_e32 v33, 0x3aee, v27
	v_add_f16_e32 v27, v41, v42
	v_add_f16_e32 v39, v52, v36
	;; [unrolled: 1-line block ×3, first 2 shown]
	v_fmac_f16_e32 v52, -0.5, v38
	v_sub_f16_e32 v38, v41, v42
	v_fmac_f16_e32 v34, -0.5, v27
	v_sub_f16_e32 v27, v36, v37
	v_add_f16_e32 v36, v40, v42
	v_pack_b32_f16 v29, v29, v33
	v_add_f16_e32 v33, v39, v37
	v_fmamk_f16 v37, v38, 0x3aee, v52
	v_fmamk_f16 v39, v27, 0xbaee, v34
	ds_write2_b32 v189, v30, v28 offset1:50
	ds_write_b32 v189, v29 offset:400
	v_mad_u16 v28, 0x96, v113, v114
	v_pack_b32_f16 v29, v33, v36
	v_lshrrev_b32_e32 v33, 16, v59
	v_lshrrev_b32_e32 v36, 16, v62
	v_pack_b32_f16 v30, v37, v39
	v_lshlrev_b32_sdwa v182, v46, v28 dst_sel:DWORD dst_unused:UNUSED_PAD src0_sel:DWORD src1_sel:WORD_0
	v_mul_f16_sdwa v28, v59, v85 dst_sel:DWORD dst_unused:UNUSED_PAD src0_sel:DWORD src1_sel:WORD_1
	v_mul_f16_sdwa v37, v62, v86 dst_sel:DWORD dst_unused:UNUSED_PAD src0_sel:DWORD src1_sel:WORD_1
	;; [unrolled: 1-line block ×4, first 2 shown]
	ds_write2_b32 v182, v29, v30 offset1:50
	v_fmac_f16_e32 v28, v33, v85
	v_fmac_f16_e32 v37, v36, v86
	v_fma_f16 v29, v59, v85, -v39
	v_fma_f16 v30, v62, v86, -v40
	v_lshrrev_b32_e32 v33, 16, v57
	v_fmac_f16_e32 v34, 0x3aee, v27
	v_add_f16_e32 v36, v28, v37
	v_fmac_f16_e32 v52, 0xbaee, v38
	v_add_f16_e32 v27, v29, v30
	v_add_f16_e32 v38, v33, v28
	v_sub_f16_e32 v28, v28, v37
	v_fmac_f16_e32 v33, -0.5, v36
	v_add_f16_e32 v36, v57, v29
	v_fma_f16 v27, -0.5, v27, v57
	v_sub_f16_e32 v29, v29, v30
	v_add_f16_e32 v37, v38, v37
	v_lshrrev_b32_e32 v39, 16, v60
	v_add_f16_e32 v30, v36, v30
	v_fmamk_f16 v36, v28, 0x3aee, v27
	v_fmamk_f16 v38, v29, 0xbaee, v33
	v_lshrrev_b32_e32 v40, 16, v63
	v_mul_f16_sdwa v42, v60, v71 dst_sel:DWORD dst_unused:UNUSED_PAD src0_sel:DWORD src1_sel:WORD_1
	v_pack_b32_f16 v30, v30, v37
	v_mul_f16_sdwa v37, v39, v71 dst_sel:DWORD dst_unused:UNUSED_PAD src0_sel:DWORD src1_sel:WORD_1
	v_pack_b32_f16 v36, v36, v38
	v_mul_f16_sdwa v38, v40, v72 dst_sel:DWORD dst_unused:UNUSED_PAD src0_sel:DWORD src1_sel:WORD_1
	v_mul_f16_sdwa v43, v63, v72 dst_sel:DWORD dst_unused:UNUSED_PAD src0_sel:DWORD src1_sel:WORD_1
	v_fmac_f16_e32 v42, v39, v71
	v_fma_f16 v37, v60, v71, -v37
	v_mad_u16 v41, 0x96, v116, v165
	v_fma_f16 v38, v63, v72, -v38
	v_fmac_f16_e32 v43, v40, v72
	v_fmac_f16_e32 v27, 0xbaee, v28
	v_lshrrev_b32_e32 v28, 16, v58
	v_fmac_f16_e32 v33, 0x3aee, v29
	v_add_f16_e32 v39, v37, v38
	v_add_f16_e32 v29, v42, v43
	v_lshlrev_b32_sdwa v185, v46, v41 dst_sel:DWORD dst_unused:UNUSED_PAD src0_sel:DWORD src1_sel:WORD_0
	v_add_f16_e32 v40, v58, v37
	v_add_f16_e32 v41, v28, v42
	v_fmac_f16_e32 v58, -0.5, v39
	v_sub_f16_e32 v39, v42, v43
	v_fmac_f16_e32 v28, -0.5, v29
	v_sub_f16_e32 v29, v37, v38
	v_add_f16_e32 v37, v41, v43
	v_pack_b32_f16 v27, v27, v33
	v_add_f16_e32 v33, v40, v38
	v_fmamk_f16 v38, v39, 0x3aee, v58
	v_fmamk_f16 v40, v29, 0xbaee, v28
	v_mad_u16 v41, 0x96, v167, v168
	v_fmac_f16_e32 v58, 0xbaee, v39
	v_fmac_f16_e32 v28, 0x3aee, v29
	v_pack_b32_f16 v34, v52, v34
	v_pack_b32_f16 v29, v33, v37
	;; [unrolled: 1-line block ×3, first 2 shown]
	v_lshlrev_b32_sdwa v192, v46, v41 dst_sel:DWORD dst_unused:UNUSED_PAD src0_sel:DWORD src1_sel:WORD_0
	v_pack_b32_f16 v28, v58, v28
	ds_write_b32 v182, v34 offset:400
	ds_write2_b32 v185, v30, v36 offset1:50
	ds_write_b32 v185, v27 offset:400
	ds_write2_b32 v192, v29, v33 offset1:50
	v_add_co_u32 v27, s0, v148, -15
	ds_write_b32 v192, v28 offset:400
	v_add_co_ci_u32_e64 v28, null, 0, -1, s0
	v_cndmask_b32_e32 v27, v27, v31, vcc_lo
	v_mov_b32_e32 v30, 0xda75
	v_lshlrev_b32_e32 v36, 3, v148
	v_cndmask_b32_e32 v28, v28, v61, vcc_lo
	s_waitcnt lgkmcnt(0)
	s_barrier
	v_mul_u32_u24_sdwa v33, v65, v30 dst_sel:DWORD dst_unused:UNUSED_PAD src0_sel:WORD_0 src1_sel:DWORD
	buffer_gl0_inv
	v_lshlrev_b64 v[28:29], 3, v[27:28]
	global_load_dwordx2 v[69:70], v36, s[2:3] offset:560
	v_lshrrev_b32_e32 v76, 22, v33
	v_mul_u32_u24_sdwa v33, v74, v30 dst_sel:DWORD dst_unused:UNUSED_PAD src0_sel:WORD_0 src1_sel:DWORD
	v_add_co_u32 v28, vcc_lo, s2, v28
	v_add_co_ci_u32_e32 v29, vcc_lo, s3, v29, vcc_lo
	v_lshrrev_b32_e32 v88, 22, v33
	v_mul_u32_u24_sdwa v33, v75, v30 dst_sel:DWORD dst_unused:UNUSED_PAD src0_sel:WORD_0 src1_sel:DWORD
	v_cmp_lt_u16_e32 vcc_lo, 14, v45
	global_load_dwordx2 v[67:68], v[28:29], off offset:560
	v_mul_lo_u16 v28, 0x96, v76
	v_lshrrev_b32_e32 v96, 22, v33
	v_mul_u32_u24_sdwa v33, v78, v30 dst_sel:DWORD dst_unused:UNUSED_PAD src0_sel:WORD_0 src1_sel:DWORD
	v_sub_nc_u16 v80, v32, v28
	v_lshrrev_b32_e32 v78, 22, v33
	v_mul_u32_u24_sdwa v33, v90, v30 dst_sel:DWORD dst_unused:UNUSED_PAD src0_sel:WORD_0 src1_sel:DWORD
	v_lshlrev_b16 v28, 3, v80
	v_mad_u16 v76, 0x1c2, v76, v80
	v_lshrrev_b32_e32 v90, 22, v33
	v_and_b32_e32 v28, 0xffff, v28
	v_add_co_u32 v28, s0, s2, v28
	v_add_co_ci_u32_e64 v29, null, s3, 0, s0
	global_load_dwordx2 v[63:64], v[28:29], off offset:560
	v_mul_lo_u16 v28, 0x96, v88
	v_sub_nc_u16 v94, v73, v28
	v_lshlrev_b16 v28, 3, v94
	v_and_b32_e32 v28, 0xffff, v28
	v_add_co_u32 v28, s0, s2, v28
	v_add_co_ci_u32_e64 v29, null, s3, 0, s0
	global_load_dwordx2 v[59:60], v[28:29], off offset:560
	v_mul_lo_u16 v28, 0x96, v96
	v_sub_nc_u16 v116, v77, v28
	v_lshlrev_b32_e32 v77, 3, v77
	v_lshlrev_b16 v28, 3, v116
	v_and_b32_e32 v28, 0xffff, v28
	v_add_co_u32 v28, s0, s2, v28
	v_add_co_ci_u32_e64 v29, null, s3, 0, s0
	global_load_dwordx2 v[57:58], v[28:29], off offset:560
	v_mul_lo_u16 v28, 0x96, v78
	v_sub_nc_u16 v167, v79, v28
	v_lshlrev_b32_e32 v79, 3, v79
	v_lshlrev_b16 v28, 3, v167
	v_and_b32_e32 v28, 0xffff, v28
	v_add_co_u32 v28, s0, s2, v28
	v_add_co_ci_u32_e64 v29, null, s3, 0, s0
	global_load_dwordx2 v[53:54], v[28:29], off offset:560
	v_mul_lo_u16 v28, 0x96, v90
	v_mul_u32_u24_sdwa v29, v112, v30 dst_sel:DWORD dst_unused:UNUSED_PAD src0_sel:WORD_0 src1_sel:DWORD
	v_sub_nc_u16 v169, v87, v28
	v_lshrrev_b32_e32 v175, 22, v29
	v_lshlrev_b16 v28, 3, v169
	v_mul_lo_u16 v33, 0x96, v175
	v_and_b32_e32 v28, 0xffff, v28
	v_sub_nc_u16 v176, v89, v33
	v_add_co_u32 v28, s0, s2, v28
	v_add_co_ci_u32_e64 v29, null, s3, 0, s0
	global_load_dwordx2 v[39:40], v[28:29], off offset:560
	v_lshlrev_b16 v28, 3, v176
	v_and_b32_e32 v28, 0xffff, v28
	v_add_co_u32 v28, s0, s2, v28
	v_add_co_ci_u32_e64 v29, null, s3, 0, s0
	global_load_dwordx2 v[41:42], v[28:29], off offset:560
	v_mul_u32_u24_sdwa v28, v115, v30 dst_sel:DWORD dst_unused:UNUSED_PAD src0_sel:WORD_0 src1_sel:DWORD
	v_mul_u32_u24_sdwa v29, v166, v30 dst_sel:DWORD dst_unused:UNUSED_PAD src0_sel:WORD_0 src1_sel:DWORD
	v_lshrrev_b32_e32 v181, 22, v28
	v_lshrrev_b32_e32 v30, 22, v29
	v_mul_lo_u16 v28, 0x96, v181
	v_mul_lo_u16 v30, 0x96, v30
	v_sub_nc_u16 v186, v93, v28
	v_sub_nc_u16 v30, v95, v30
	v_lshlrev_b16 v28, 3, v186
	v_and_b32_e32 v28, 0xffff, v28
	v_add_co_u32 v28, s0, s2, v28
	v_add_co_ci_u32_e64 v29, null, s3, 0, s0
	global_load_dwordx2 v[43:44], v[28:29], off offset:560
	v_lshlrev_b16 v28, 3, v30
	ds_read2_b32 v[37:38], v143 offset0:70 offset1:205
	ds_read2_b32 v[47:48], v156 offset0:12 offset1:147
	v_and_b32_e32 v28, 0xffff, v28
	v_add_co_u32 v28, s0, s2, v28
	v_add_co_ci_u32_e64 v29, null, s3, 0, s0
	global_load_dwordx2 v[33:34], v[28:29], off offset:560
	ds_read2_b32 v[28:29], v153 offset1:135
	s_waitcnt lgkmcnt(2)
	v_lshrrev_b32_e32 v49, 16, v37
	s_waitcnt lgkmcnt(1)
	v_lshrrev_b32_e32 v50, 16, v47
	v_lshrrev_b32_e32 v172, 16, v38
	;; [unrolled: 1-line block ×3, first 2 shown]
	s_waitcnt lgkmcnt(0)
	v_lshrrev_b32_e32 v168, 16, v28
	s_waitcnt vmcnt(9)
	v_mul_f16_sdwa v51, v37, v69 dst_sel:DWORD dst_unused:UNUSED_PAD src0_sel:DWORD src1_sel:WORD_1
	v_mul_f16_sdwa v52, v47, v70 dst_sel:DWORD dst_unused:UNUSED_PAD src0_sel:DWORD src1_sel:WORD_1
	;; [unrolled: 1-line block ×4, first 2 shown]
	v_fmac_f16_e32 v51, v49, v69
	v_fmac_f16_e32 v52, v50, v70
	v_fma_f16 v37, v37, v69, -v55
	v_fma_f16 v47, v47, v70, -v56
	v_add_f16_e32 v55, v168, v51
	v_add_f16_e32 v49, v51, v52
	v_sub_f16_e32 v170, v51, v52
	v_add_f16_e32 v50, v37, v47
	v_add_f16_e32 v51, v28, v37
	v_sub_f16_e32 v37, v37, v47
	v_fmac_f16_e32 v168, -0.5, v49
	s_waitcnt vmcnt(8)
	v_mul_f16_sdwa v194, v172, v67 dst_sel:DWORD dst_unused:UNUSED_PAD src0_sel:DWORD src1_sel:WORD_1
	v_fma_f16 v28, -0.5, v50, v28
	v_mul_f16_sdwa v195, v193, v68 dst_sel:DWORD dst_unused:UNUSED_PAD src0_sel:DWORD src1_sel:WORD_1
	v_add_f16_e32 v49, v55, v52
	v_add_f16_e32 v47, v51, v47
	v_fmamk_f16 v51, v37, 0xbaee, v168
	v_fmamk_f16 v50, v170, 0x3aee, v28
	v_mul_f16_sdwa v204, v38, v67 dst_sel:DWORD dst_unused:UNUSED_PAD src0_sel:DWORD src1_sel:WORD_1
	v_mul_f16_sdwa v205, v48, v68 dst_sel:DWORD dst_unused:UNUSED_PAD src0_sel:DWORD src1_sel:WORD_1
	v_fma_f16 v38, v38, v67, -v194
	v_fma_f16 v48, v48, v68, -v195
	v_pack_b32_f16 v47, v47, v49
	v_pack_b32_f16 v171, v50, v51
	ds_read2_b32 v[49:50], v162 offset0:14 offset1:149
	ds_read2_b32 v[51:52], v159 offset0:84 offset1:219
	;; [unrolled: 1-line block ×11, first 2 shown]
	v_fmac_f16_e32 v204, v172, v67
	v_fmac_f16_e32 v205, v193, v68
	v_add_f16_e32 v193, v38, v48
	v_lshrrev_b32_e32 v194, 16, v29
	v_fmac_f16_e32 v28, 0xbaee, v170
	v_fmac_f16_e32 v168, 0x3aee, v37
	v_add_f16_e32 v170, v204, v205
	v_add_f16_e32 v195, v29, v38
	v_fmac_f16_e32 v29, -0.5, v193
	v_add_f16_e32 v193, v194, v204
	v_pack_b32_f16 v28, v28, v168
	ds_read2_b32 v[179:180], v134 offset0:68 offset1:203
	s_waitcnt vmcnt(0) lgkmcnt(0)
	s_barrier
	buffer_gl0_inv
	v_cndmask_b32_e64 v172, 0, 0x1c2, vcc_lo
	v_sub_f16_e32 v204, v204, v205
	v_fmac_f16_e32 v194, -0.5, v170
	v_sub_f16_e32 v38, v38, v48
	v_add_f16_e32 v37, v193, v205
	v_add_f16_e32 v48, v195, v48
	ds_write2_b32 v153, v47, v171 offset1:150
	ds_write_b32 v153, v28 offset:1200
	v_lshrrev_b32_e32 v28, 16, v51
	v_lshrrev_b32_e32 v47, 16, v55
	v_fmamk_f16 v193, v204, 0x3aee, v29
	v_fmamk_f16 v195, v38, 0xbaee, v194
	v_add_lshl_u32 v170, v27, v172, 2
	v_pack_b32_f16 v27, v48, v37
	v_mul_f16_sdwa v48, v51, v63 dst_sel:DWORD dst_unused:UNUSED_PAD src0_sel:DWORD src1_sel:WORD_1
	v_mul_f16_sdwa v168, v55, v64 dst_sel:DWORD dst_unused:UNUSED_PAD src0_sel:DWORD src1_sel:WORD_1
	;; [unrolled: 1-line block ×4, first 2 shown]
	v_pack_b32_f16 v37, v193, v195
	v_fmac_f16_e32 v29, 0xbaee, v204
	v_fmac_f16_e32 v194, 0x3aee, v38
	;; [unrolled: 1-line block ×4, first 2 shown]
	v_fma_f16 v28, v51, v63, -v171
	v_fma_f16 v38, v55, v64, -v172
	v_lshrrev_b32_e32 v47, 16, v49
	ds_write2_b32 v170, v27, v37 offset1:150
	v_pack_b32_f16 v27, v29, v194
	v_add_f16_e32 v29, v48, v168
	v_add_f16_e32 v37, v28, v38
	;; [unrolled: 1-line block ×3, first 2 shown]
	v_sub_f16_e32 v48, v48, v168
	v_add_f16_e32 v55, v49, v28
	v_fmac_f16_e32 v47, -0.5, v29
	v_fma_f16 v29, -0.5, v37, v49
	v_sub_f16_e32 v28, v28, v38
	v_add_f16_e32 v37, v51, v168
	v_add_f16_e32 v38, v55, v38
	ds_write_b32 v170, v27 offset:1200
	v_fmamk_f16 v27, v48, 0x3aee, v29
	v_fmamk_f16 v49, v28, 0xbaee, v47
	v_lshrrev_b32_e32 v51, 16, v52
	v_lshrrev_b32_e32 v55, 16, v56
	v_pack_b32_f16 v37, v38, v37
	v_mul_f16_sdwa v80, v52, v59 dst_sel:DWORD dst_unused:UNUSED_PAD src0_sel:DWORD src1_sel:WORD_1
	v_pack_b32_f16 v27, v27, v49
	v_mul_f16_sdwa v38, v51, v59 dst_sel:DWORD dst_unused:UNUSED_PAD src0_sel:DWORD src1_sel:WORD_1
	v_mul_f16_sdwa v49, v55, v60 dst_sel:DWORD dst_unused:UNUSED_PAD src0_sel:DWORD src1_sel:WORD_1
	;; [unrolled: 1-line block ×3, first 2 shown]
	v_fmac_f16_e32 v80, v51, v59
	v_fmac_f16_e32 v29, 0xbaee, v48
	v_fma_f16 v38, v52, v59, -v38
	v_fma_f16 v49, v56, v60, -v49
	v_fmac_f16_e32 v168, v55, v60
	v_lshrrev_b32_e32 v48, 16, v50
	v_fmac_f16_e32 v47, 0x3aee, v28
	v_add_f16_e32 v52, v50, v38
	v_add_f16_e32 v51, v38, v49
	;; [unrolled: 1-line block ×4, first 2 shown]
	v_lshlrev_b32_sdwa v171, v46, v76 dst_sel:DWORD dst_unused:UNUSED_PAD src0_sel:DWORD src1_sel:WORD_0
	v_pack_b32_f16 v29, v29, v47
	v_fmac_f16_e32 v50, -0.5, v51
	v_sub_f16_e32 v51, v80, v168
	v_fmac_f16_e32 v48, -0.5, v28
	v_sub_f16_e32 v28, v38, v49
	v_add_f16_e32 v38, v55, v168
	v_add_f16_e32 v47, v52, v49
	v_fmamk_f16 v49, v51, 0x3aee, v50
	ds_write2_b32 v171, v37, v27 offset1:150
	ds_write_b32 v171, v29 offset:1200
	v_fmamk_f16 v52, v28, 0xbaee, v48
	v_mad_u16 v27, 0x1c2, v88, v94
	v_pack_b32_f16 v29, v47, v38
	v_lshrrev_b32_e32 v38, 16, v65
	v_lshrrev_b32_e32 v47, 16, v74
	v_pack_b32_f16 v37, v49, v52
	v_lshlrev_b32_sdwa v168, v46, v27 dst_sel:DWORD dst_unused:UNUSED_PAD src0_sel:DWORD src1_sel:WORD_0
	v_mul_f16_sdwa v27, v65, v57 dst_sel:DWORD dst_unused:UNUSED_PAD src0_sel:DWORD src1_sel:WORD_1
	v_mul_f16_sdwa v49, v74, v58 dst_sel:DWORD dst_unused:UNUSED_PAD src0_sel:DWORD src1_sel:WORD_1
	;; [unrolled: 1-line block ×4, first 2 shown]
	ds_write2_b32 v168, v29, v37 offset1:150
	v_fmac_f16_e32 v27, v38, v57
	v_fmac_f16_e32 v49, v47, v58
	v_fma_f16 v29, v65, v57, -v52
	v_fma_f16 v37, v74, v58, -v55
	v_lshrrev_b32_e32 v38, 16, v61
	v_fmac_f16_e32 v48, 0x3aee, v28
	v_add_f16_e32 v28, v27, v49
	v_fmac_f16_e32 v50, 0xbaee, v51
	v_add_f16_e32 v47, v29, v37
	v_add_f16_e32 v51, v38, v27
	v_sub_f16_e32 v27, v27, v49
	v_add_f16_e32 v52, v61, v29
	v_fmac_f16_e32 v38, -0.5, v28
	v_fma_f16 v28, -0.5, v47, v61
	v_sub_f16_e32 v29, v29, v37
	v_add_f16_e32 v47, v51, v49
	v_add_f16_e32 v37, v52, v37
	v_pack_b32_f16 v48, v50, v48
	v_fmamk_f16 v49, v27, 0x3aee, v28
	v_fmamk_f16 v50, v29, 0xbaee, v38
	v_mad_u16 v51, 0x1c2, v96, v116
	v_pack_b32_f16 v37, v37, v47
	v_lshrrev_b32_e32 v47, 16, v66
	v_lshrrev_b32_e32 v52, 16, v75
	v_pack_b32_f16 v49, v49, v50
	v_lshlrev_b32_sdwa v172, v46, v51 dst_sel:DWORD dst_unused:UNUSED_PAD src0_sel:DWORD src1_sel:WORD_0
	ds_write_b32 v168, v48 offset:1200
	v_mul_f16_sdwa v48, v47, v53 dst_sel:DWORD dst_unused:UNUSED_PAD src0_sel:DWORD src1_sel:WORD_1
	v_mul_f16_sdwa v50, v52, v54 dst_sel:DWORD dst_unused:UNUSED_PAD src0_sel:DWORD src1_sel:WORD_1
	;; [unrolled: 1-line block ×3, first 2 shown]
	ds_write2_b32 v172, v37, v49 offset1:150
	v_mul_f16_sdwa v37, v75, v54 dst_sel:DWORD dst_unused:UNUSED_PAD src0_sel:DWORD src1_sel:WORD_1
	v_fma_f16 v48, v66, v53, -v48
	v_fma_f16 v49, v75, v54, -v50
	v_fmac_f16_e32 v51, v47, v53
	v_lshrrev_b32_e32 v47, 16, v62
	v_fmac_f16_e32 v37, v52, v54
	v_fmac_f16_e32 v28, 0xbaee, v27
	v_add_f16_e32 v27, v48, v49
	v_fmac_f16_e32 v38, 0x3aee, v29
	v_add_f16_e32 v29, v47, v51
	v_add_f16_e32 v50, v51, v37
	;; [unrolled: 1-line block ×3, first 2 shown]
	v_fmac_f16_e32 v62, -0.5, v27
	v_sub_f16_e32 v27, v51, v37
	v_add_f16_e32 v29, v29, v37
	v_fmac_f16_e32 v47, -0.5, v50
	v_sub_f16_e32 v37, v48, v49
	v_pack_b32_f16 v28, v28, v38
	v_add_f16_e32 v38, v52, v49
	v_fmamk_f16 v48, v27, 0x3aee, v62
	v_fmac_f16_e32 v62, 0xbaee, v27
	v_fmamk_f16 v27, v37, 0xbaee, v47
	v_fmac_f16_e32 v47, 0x3aee, v37
	v_lshrrev_b32_e32 v37, 16, v114
	v_pack_b32_f16 v29, v38, v29
	v_mul_f16_sdwa v38, v114, v39 dst_sel:DWORD dst_unused:UNUSED_PAD src0_sel:DWORD src1_sel:WORD_1
	v_lshrrev_b32_e32 v49, 16, v165
	v_mul_f16_sdwa v50, v165, v40 dst_sel:DWORD dst_unused:UNUSED_PAD src0_sel:DWORD src1_sel:WORD_1
	v_mul_f16_sdwa v51, v37, v39 dst_sel:DWORD dst_unused:UNUSED_PAD src0_sel:DWORD src1_sel:WORD_1
	v_pack_b32_f16 v27, v48, v27
	v_fmac_f16_e32 v38, v37, v39
	v_lshrrev_b32_e32 v37, 16, v112
	v_fmac_f16_e32 v50, v49, v40
	v_mul_f16_sdwa v49, v49, v40 dst_sel:DWORD dst_unused:UNUSED_PAD src0_sel:DWORD src1_sel:WORD_1
	v_fma_f16 v51, v114, v39, -v51
	v_mul_f16_sdwa v66, v115, v41 dst_sel:DWORD dst_unused:UNUSED_PAD src0_sel:DWORD src1_sel:WORD_1
	v_add_f16_e32 v48, v37, v38
	v_add_f16_e32 v52, v38, v50
	v_fma_f16 v49, v165, v40, -v49
	v_add_f16_e32 v55, v112, v51
	v_sub_f16_e32 v38, v38, v50
	v_add_f16_e32 v48, v48, v50
	v_fmac_f16_e32 v37, -0.5, v52
	v_add_f16_e32 v50, v51, v49
	v_add_f16_e32 v52, v55, v49
	v_sub_f16_e32 v49, v51, v49
	v_lshrrev_b32_e32 v51, 16, v115
	v_lshrrev_b32_e32 v55, 16, v166
	v_mul_f16_sdwa v74, v166, v42 dst_sel:DWORD dst_unused:UNUSED_PAD src0_sel:DWORD src1_sel:WORD_1
	v_pack_b32_f16 v48, v52, v48
	v_fma_f16 v50, -0.5, v50, v112
	v_mul_f16_sdwa v52, v51, v41 dst_sel:DWORD dst_unused:UNUSED_PAD src0_sel:DWORD src1_sel:WORD_1
	v_mul_f16_sdwa v61, v55, v42 dst_sel:DWORD dst_unused:UNUSED_PAD src0_sel:DWORD src1_sel:WORD_1
	v_fmac_f16_e32 v66, v51, v41
	v_fmac_f16_e32 v74, v55, v42
	v_pack_b32_f16 v47, v62, v47
	v_fma_f16 v52, v115, v41, -v52
	v_fma_f16 v61, v166, v42, -v61
	v_fmamk_f16 v62, v38, 0x3aee, v50
	v_fmamk_f16 v65, v49, 0xbaee, v37
	v_fmac_f16_e32 v50, 0xbaee, v38
	v_lshrrev_b32_e32 v38, 16, v113
	v_add_f16_e32 v51, v52, v61
	v_fmac_f16_e32 v37, 0x3aee, v49
	v_add_f16_e32 v49, v66, v74
	v_pack_b32_f16 v62, v62, v65
	v_add_f16_e32 v55, v113, v52
	v_add_f16_e32 v65, v38, v66
	v_fmac_f16_e32 v113, -0.5, v51
	v_sub_f16_e32 v51, v66, v74
	v_fmac_f16_e32 v38, -0.5, v49
	v_sub_f16_e32 v49, v52, v61
	ds_write_b32 v172, v28 offset:1200
	v_mad_u16 v28, 0x1c2, v78, v167
	v_mad_u16 v56, 0x1c2, v90, v169
	v_add_f16_e32 v52, v65, v74
	v_add_f16_e32 v55, v55, v61
	v_pack_b32_f16 v37, v50, v37
	v_fmamk_f16 v50, v51, 0x3aee, v113
	v_fmamk_f16 v61, v49, 0xbaee, v38
	v_mad_u16 v65, 0x1c2, v175, v176
	v_lshlrev_b32_sdwa v176, v46, v28 dst_sel:DWORD dst_unused:UNUSED_PAD src0_sel:DWORD src1_sel:WORD_0
	v_lshlrev_b32_sdwa v175, v46, v56 dst_sel:DWORD dst_unused:UNUSED_PAD src0_sel:DWORD src1_sel:WORD_0
	v_pack_b32_f16 v28, v55, v52
	v_pack_b32_f16 v50, v50, v61
	v_lshlrev_b32_sdwa v166, v46, v65 dst_sel:DWORD dst_unused:UNUSED_PAD src0_sel:DWORD src1_sel:WORD_0
	ds_write2_b32 v176, v29, v27 offset1:150
	ds_write_b32 v176, v47 offset:1200
	ds_write2_b32 v175, v48, v62 offset1:150
	ds_write_b32 v175, v37 offset:1200
	ds_write2_b32 v166, v28, v50 offset1:150
	v_lshrrev_b32_e32 v27, 16, v173
	v_mul_f16_sdwa v28, v173, v43 dst_sel:DWORD dst_unused:UNUSED_PAD src0_sel:DWORD src1_sel:WORD_1
	v_lshrrev_b32_e32 v29, 16, v179
	v_mul_f16_sdwa v37, v179, v44 dst_sel:DWORD dst_unused:UNUSED_PAD src0_sel:DWORD src1_sel:WORD_1
	;; [unrolled: 2-line block ×3, first 2 shown]
	v_fmac_f16_e32 v28, v27, v43
	v_mul_f16_sdwa v27, v29, v44 dst_sel:DWORD dst_unused:UNUSED_PAD src0_sel:DWORD src1_sel:WORD_1
	v_fmac_f16_e32 v37, v29, v44
	v_fmac_f16_e32 v38, 0x3aee, v49
	v_fma_f16 v29, v173, v43, -v47
	v_add_f16_e32 v47, v48, v28
	v_fma_f16 v27, v179, v44, -v27
	v_add_f16_e32 v49, v28, v37
	v_sub_f16_e32 v28, v28, v37
	v_add_f16_e32 v50, v177, v29
	v_add_f16_e32 v37, v47, v37
	v_fmac_f16_e32 v113, 0xbaee, v51
	v_fmac_f16_e32 v48, -0.5, v49
	v_lshrrev_b32_e32 v49, 16, v174
	v_add_f16_e32 v47, v50, v27
	v_lshrrev_b32_e32 v50, 16, v180
	v_add_f16_e32 v51, v29, v27
	v_mul_f16_sdwa v61, v174, v33 dst_sel:DWORD dst_unused:UNUSED_PAD src0_sel:DWORD src1_sel:WORD_1
	v_mul_f16_sdwa v52, v49, v33 dst_sel:DWORD dst_unused:UNUSED_PAD src0_sel:DWORD src1_sel:WORD_1
	;; [unrolled: 1-line block ×4, first 2 shown]
	v_sub_f16_e32 v27, v29, v27
	v_fma_f16 v29, -0.5, v51, v177
	v_fma_f16 v52, v174, v33, -v52
	v_fmac_f16_e32 v61, v49, v33
	v_fma_f16 v55, v180, v34, -v55
	v_fmac_f16_e32 v62, v50, v34
	v_mad_u16 v51, 0x1c2, v181, v186
	v_lshrrev_b32_e32 v50, 16, v178
	v_pack_b32_f16 v37, v47, v37
	v_add_f16_e32 v49, v52, v55
	v_fmamk_f16 v47, v28, 0x3aee, v29
	v_fmamk_f16 v56, v27, 0xbaee, v48
	v_fmac_f16_e32 v29, 0xbaee, v28
	v_add_f16_e32 v28, v61, v62
	v_lshlrev_b32_sdwa v169, v46, v51 dst_sel:DWORD dst_unused:UNUSED_PAD src0_sel:DWORD src1_sel:WORD_0
	v_add_f16_e32 v51, v178, v52
	v_fmac_f16_e32 v178, -0.5, v49
	v_add_f16_e32 v49, v50, v61
	v_pack_b32_f16 v47, v47, v56
	v_sub_f16_e32 v56, v61, v62
	v_fmac_f16_e32 v50, -0.5, v28
	v_sub_f16_e32 v28, v52, v55
	v_fmac_f16_e32 v48, 0x3aee, v27
	v_add_f16_e32 v27, v49, v62
	v_add_f16_e32 v49, v51, v55
	v_fmamk_f16 v51, v56, 0x3aee, v178
	v_fmamk_f16 v52, v28, 0xbaee, v50
	v_lshlrev_b32_sdwa v173, v46, v30 dst_sel:DWORD dst_unused:UNUSED_PAD src0_sel:DWORD src1_sel:WORD_0
	v_fmac_f16_e32 v178, 0xbaee, v56
	v_fmac_f16_e32 v50, 0x3aee, v28
	v_pack_b32_f16 v38, v113, v38
	v_pack_b32_f16 v27, v49, v27
	v_lshlrev_b32_e32 v49, 3, v31
	v_pack_b32_f16 v28, v29, v48
	v_pack_b32_f16 v29, v51, v52
	v_add_nc_u32_e32 v174, 0x3800, v173
	v_pack_b32_f16 v30, v178, v50
	ds_write_b32 v166, v38 offset:1200
	ds_write2_b32 v169, v37, v47 offset1:150
	ds_write_b32 v169, v28 offset:1200
	ds_write2_b32 v174, v27, v29 offset0:16 offset1:166
	ds_write_b32 v173, v30 offset:15600
	s_waitcnt lgkmcnt(0)
	s_barrier
	buffer_gl0_inv
	s_clause 0x1
	global_load_dwordx2 v[29:30], v36, s[2:3] offset:1760
	global_load_dwordx2 v[27:28], v49, s[2:3] offset:1760
	v_lshlrev_b32_e32 v74, 3, v32
	v_add_co_u32 v31, s0, 0xffffffd3, v148
	v_add_co_ci_u32_e64 v32, null, 0, -1, s0
	global_load_dwordx2 v[61:62], v74, s[2:3] offset:1760
	v_cmp_gt_u16_e32 vcc_lo, 45, v45
	v_add_co_u32 v50, s0, s2, v36
	v_add_co_ci_u32_e64 v75, null, s3, 0, s0
	v_cndmask_b32_e32 v113, v32, v35, vcc_lo
	v_cndmask_b32_e32 v112, v31, v73, vcc_lo
	v_lshlrev_b32_e32 v73, 3, v73
	v_lshlrev_b64 v[31:32], 3, v[112:113]
	v_add_co_u32 v31, vcc_lo, s2, v31
	v_add_co_ci_u32_e32 v32, vcc_lo, s3, v32, vcc_lo
	global_load_dwordx2 v[65:66], v[31:32], off offset:1760
	v_add_co_u32 v31, vcc_lo, 0x800, v50
	v_add_co_ci_u32_e32 v32, vcc_lo, 0, v75, vcc_lo
	s_clause 0x1
	global_load_dwordx2 v[55:56], v[31:32], off offset:432
	global_load_dwordx2 v[47:48], v[31:32], off offset:1512
	v_mov_b32_e32 v31, 0x91a3
	v_cmp_lt_u16_e32 vcc_lo, 44, v45
	v_mul_u32_u24_sdwa v32, v87, v31 dst_sel:DWORD dst_unused:UNUSED_PAD src0_sel:WORD_0 src1_sel:DWORD
	v_mul_u32_u24_sdwa v35, v89, v31 dst_sel:DWORD dst_unused:UNUSED_PAD src0_sel:WORD_0 src1_sel:DWORD
	v_cndmask_b32_e64 v45, 0, 0x546, vcc_lo
	v_lshrrev_b32_e32 v88, 24, v32
	v_lshrrev_b32_e32 v32, 24, v35
	v_mul_lo_u16 v35, 0x1c2, v88
	v_mul_lo_u16 v32, 0x1c2, v32
	v_sub_nc_u16 v90, v87, v35
	v_sub_nc_u16 v76, v89, v32
	v_mul_u32_u24_sdwa v32, v93, v31 dst_sel:DWORD dst_unused:UNUSED_PAD src0_sel:WORD_0 src1_sel:DWORD
	v_mul_u32_u24_sdwa v31, v95, v31 dst_sel:DWORD dst_unused:UNUSED_PAD src0_sel:WORD_0 src1_sel:DWORD
	v_lshlrev_b32_e32 v87, 3, v87
	v_lshlrev_b16 v35, 3, v90
	v_lshlrev_b16 v36, 3, v76
	v_lshrrev_b32_e32 v32, 24, v32
	v_lshrrev_b32_e32 v38, 24, v31
	v_mad_u16 v88, 0x546, v88, v90
	v_and_b32_e32 v35, 0xffff, v35
	v_and_b32_e32 v36, 0xffff, v36
	v_mul_lo_u16 v37, 0x1c2, v32
	v_mul_lo_u16 v38, 0x1c2, v38
	v_lshlrev_b32_e32 v89, 3, v89
	v_add_co_u32 v31, s0, s2, v35
	v_add_co_ci_u32_e64 v32, null, s3, 0, s0
	v_add_co_u32 v35, s0, s2, v36
	v_add_co_ci_u32_e64 v36, null, s3, 0, s0
	v_sub_nc_u16 v78, v93, v37
	v_sub_nc_u16 v80, v95, v38
	s_clause 0x1
	global_load_dwordx2 v[51:52], v[31:32], off offset:1760
	global_load_dwordx2 v[37:38], v[35:36], off offset:1760
	v_lshlrev_b32_e32 v93, 3, v93
	v_lshlrev_b16 v31, 3, v78
	v_lshlrev_b16 v32, 3, v80
	v_lshlrev_b32_e32 v95, 3, v95
	v_and_b32_e32 v31, 0xffff, v31
	v_and_b32_e32 v35, 0xffff, v32
	v_add_co_u32 v31, s0, s2, v31
	v_add_co_ci_u32_e64 v32, null, s3, 0, s0
	v_add_co_u32 v113, s0, s2, v35
	v_add_co_ci_u32_e64 v114, null, s3, 0, s0
	s_clause 0x1
	global_load_dwordx2 v[35:36], v[31:32], off offset:1760
	global_load_dwordx2 v[31:32], v[113:114], off offset:1760
	ds_read2_b32 v[113:114], v143 offset0:70 offset1:205
	ds_read2_b32 v[115:116], v156 offset0:12 offset1:147
	ds_read2_b32 v[177:178], v153 offset1:135
	s_waitcnt lgkmcnt(2)
	v_lshrrev_b32_e32 v94, 16, v113
	s_waitcnt lgkmcnt(1)
	v_lshrrev_b32_e32 v179, 16, v115
	v_lshrrev_b32_e32 v96, 16, v114
	;; [unrolled: 1-line block ×3, first 2 shown]
	s_waitcnt vmcnt(9)
	v_mul_f16_sdwa v165, v113, v29 dst_sel:DWORD dst_unused:UNUSED_PAD src0_sel:DWORD src1_sel:WORD_1
	v_mul_f16_sdwa v167, v94, v29 dst_sel:DWORD dst_unused:UNUSED_PAD src0_sel:DWORD src1_sel:WORD_1
	v_mul_f16_sdwa v186, v179, v30 dst_sel:DWORD dst_unused:UNUSED_PAD src0_sel:DWORD src1_sel:WORD_1
	s_waitcnt vmcnt(8)
	v_mul_f16_sdwa v180, v96, v27 dst_sel:DWORD dst_unused:UNUSED_PAD src0_sel:DWORD src1_sel:WORD_1
	v_mul_f16_sdwa v220, v116, v28 dst_sel:DWORD dst_unused:UNUSED_PAD src0_sel:DWORD src1_sel:WORD_1
	v_fmac_f16_e32 v165, v94, v29
	v_mul_f16_sdwa v94, v115, v30 dst_sel:DWORD dst_unused:UNUSED_PAD src0_sel:DWORD src1_sel:WORD_1
	v_fma_f16 v113, v113, v29, -v167
	v_fma_f16 v115, v115, v30, -v186
	v_mul_f16_sdwa v167, v181, v28 dst_sel:DWORD dst_unused:UNUSED_PAD src0_sel:DWORD src1_sel:WORD_1
	v_fma_f16 v195, v114, v27, -v180
	v_fmac_f16_e32 v94, v179, v30
	v_mul_f16_sdwa v186, v114, v27 dst_sel:DWORD dst_unused:UNUSED_PAD src0_sel:DWORD src1_sel:WORD_1
	s_waitcnt lgkmcnt(0)
	v_lshrrev_b32_e32 v114, 16, v177
	v_add_f16_e32 v180, v113, v115
	v_fma_f16 v167, v116, v28, -v167
	v_add_f16_e32 v179, v165, v94
	v_add_f16_e32 v116, v177, v113
	;; [unrolled: 1-line block ×3, first 2 shown]
	v_fma_f16 v177, -0.5, v180, v177
	v_sub_f16_e32 v165, v165, v94
	v_fmac_f16_e32 v186, v96, v27
	v_lshrrev_b32_e32 v96, 16, v178
	v_fmac_f16_e32 v114, -0.5, v179
	v_add_f16_e32 v116, v116, v115
	v_sub_f16_e32 v113, v113, v115
	v_fmamk_f16 v115, v165, 0x3aee, v177
	v_fmac_f16_e32 v177, 0xbaee, v165
	v_fmac_f16_e32 v220, v181, v28
	v_add_f16_e32 v165, v178, v195
	v_add_f16_e32 v179, v96, v186
	;; [unrolled: 1-line block ×3, first 2 shown]
	v_fmamk_f16 v180, v113, 0xbaee, v114
	v_fmac_f16_e32 v114, 0x3aee, v113
	v_add_f16_e32 v113, v165, v167
	v_add_f16_e32 v165, v179, v220
	v_pack_b32_f16 v94, v116, v94
	v_pack_b32_f16 v181, v115, v180
	;; [unrolled: 1-line block ×3, first 2 shown]
	v_add_f16_e32 v221, v195, v167
	v_pack_b32_f16 v165, v113, v165
	ds_read2_b32 v[113:114], v162 offset0:14 offset1:149
	ds_read2_b32 v[115:116], v159 offset0:84 offset1:219
	;; [unrolled: 1-line block ×12, first 2 shown]
	s_waitcnt vmcnt(0) lgkmcnt(0)
	s_barrier
	buffer_gl0_inv
	v_add_f16_e32 v222, v186, v220
	v_fmac_f16_e32 v178, -0.5, v221
	v_sub_f16_e32 v186, v186, v220
	ds_write_b32 v153, v181 offset:1800
	ds_write_b32 v153, v177 offset:3600
	v_sub_f16_e32 v167, v195, v167
	v_fmac_f16_e32 v96, -0.5, v222
	v_lshrrev_b32_e32 v181, 16, v115
	v_lshrrev_b32_e32 v195, 16, v179
	v_fmamk_f16 v177, v186, 0x3aee, v178
	v_mul_f16_sdwa v220, v115, v61 dst_sel:DWORD dst_unused:UNUSED_PAD src0_sel:DWORD src1_sel:WORD_1
	v_mul_f16_sdwa v221, v179, v62 dst_sel:DWORD dst_unused:UNUSED_PAD src0_sel:DWORD src1_sel:WORD_1
	v_fmac_f16_e32 v178, 0xbaee, v186
	v_mul_f16_sdwa v186, v181, v61 dst_sel:DWORD dst_unused:UNUSED_PAD src0_sel:DWORD src1_sel:WORD_1
	v_mul_f16_sdwa v222, v195, v62 dst_sel:DWORD dst_unused:UNUSED_PAD src0_sel:DWORD src1_sel:WORD_1
	v_fmac_f16_e32 v220, v181, v61
	v_fmac_f16_e32 v221, v195, v62
	v_lshrrev_b32_e32 v181, 16, v113
	v_fma_f16 v115, v115, v61, -v186
	v_fma_f16 v179, v179, v62, -v222
	v_fmamk_f16 v186, v167, 0xbaee, v96
	v_fmac_f16_e32 v96, 0x3aee, v167
	v_add_f16_e32 v167, v181, v220
	v_add_f16_e32 v195, v220, v221
	;; [unrolled: 1-line block ×4, first 2 shown]
	v_sub_f16_e32 v220, v220, v221
	v_add_f16_e32 v167, v167, v221
	v_fmac_f16_e32 v181, -0.5, v195
	v_fma_f16 v113, -0.5, v222, v113
	v_sub_f16_e32 v115, v115, v179
	v_add_f16_e32 v179, v223, v179
	ds_write2_b32 v153, v94, v165 offset1:135
	v_pack_b32_f16 v94, v178, v96
	v_fmamk_f16 v96, v220, 0x3aee, v113
	v_fmamk_f16 v165, v115, 0xbaee, v181
	v_pack_b32_f16 v167, v179, v167
	v_lshrrev_b32_e32 v178, 16, v116
	v_lshrrev_b32_e32 v179, 16, v180
	v_pack_b32_f16 v177, v177, v186
	v_pack_b32_f16 v96, v96, v165
	ds_write_b32 v153, v167 offset:1080
	v_mul_f16_sdwa v165, v178, v65 dst_sel:DWORD dst_unused:UNUSED_PAD src0_sel:DWORD src1_sel:WORD_1
	v_mul_f16_sdwa v167, v179, v66 dst_sel:DWORD dst_unused:UNUSED_PAD src0_sel:DWORD src1_sel:WORD_1
	;; [unrolled: 1-line block ×4, first 2 shown]
	v_fmac_f16_e32 v113, 0xbaee, v220
	v_fma_f16 v116, v116, v65, -v165
	v_fma_f16 v165, v180, v66, -v167
	v_fmac_f16_e32 v186, v178, v65
	v_fmac_f16_e32 v195, v179, v66
	v_fmac_f16_e32 v181, 0x3aee, v115
	ds_write2_b32 v146, v177, v96 offset0:73 offset1:208
	v_add_f16_e32 v96, v116, v165
	v_lshrrev_b32_e32 v115, 16, v114
	v_add_f16_e32 v167, v186, v195
	v_pack_b32_f16 v113, v113, v181
	v_add_f16_e32 v177, v114, v116
	v_fmac_f16_e32 v114, -0.5, v96
	v_sub_f16_e32 v96, v186, v195
	v_add_f16_e32 v178, v115, v186
	v_fmac_f16_e32 v115, -0.5, v167
	v_sub_f16_e32 v116, v116, v165
	ds_write2_b32 v160, v94, v113 offset0:11 offset1:146
	v_fmamk_f16 v179, v96, 0x3aee, v114
	v_fmac_f16_e32 v114, 0xbaee, v96
	v_lshrrev_b32_e32 v94, 16, v204
	v_fmamk_f16 v96, v116, 0xbaee, v115
	v_fmac_f16_e32 v115, 0x3aee, v116
	v_lshrrev_b32_e32 v113, 16, v205
	v_lshrrev_b32_e32 v180, 16, v207
	v_add_lshl_u32 v167, v112, v45, 2
	v_mul_f16_sdwa v112, v204, v55 dst_sel:DWORD dst_unused:UNUSED_PAD src0_sel:DWORD src1_sel:WORD_1
	v_pack_b32_f16 v45, v114, v115
	v_mul_f16_sdwa v114, v94, v55 dst_sel:DWORD dst_unused:UNUSED_PAD src0_sel:DWORD src1_sel:WORD_1
	v_mul_f16_sdwa v115, v113, v47 dst_sel:DWORD dst_unused:UNUSED_PAD src0_sel:DWORD src1_sel:WORD_1
	v_lshrrev_b32_e32 v116, 16, v206
	v_mul_f16_sdwa v181, v180, v48 dst_sel:DWORD dst_unused:UNUSED_PAD src0_sel:DWORD src1_sel:WORD_1
	v_add_f16_e32 v165, v177, v165
	v_add_f16_e32 v177, v178, v195
	v_fmac_f16_e32 v112, v94, v55
	v_fma_f16 v94, v204, v55, -v114
	v_fma_f16 v114, v205, v47, -v115
	v_mul_f16_sdwa v115, v116, v56 dst_sel:DWORD dst_unused:UNUSED_PAD src0_sel:DWORD src1_sel:WORD_1
	v_mul_f16_sdwa v186, v205, v47 dst_sel:DWORD dst_unused:UNUSED_PAD src0_sel:DWORD src1_sel:WORD_1
	v_fma_f16 v178, v207, v48, -v181
	v_mul_f16_sdwa v181, v206, v56 dst_sel:DWORD dst_unused:UNUSED_PAD src0_sel:DWORD src1_sel:WORD_1
	v_pack_b32_f16 v165, v165, v177
	v_lshrrev_b32_e32 v177, 16, v193
	v_fma_f16 v115, v206, v56, -v115
	v_mul_f16_sdwa v195, v207, v48 dst_sel:DWORD dst_unused:UNUSED_PAD src0_sel:DWORD src1_sel:WORD_1
	v_fmac_f16_e32 v181, v116, v56
	v_add_f16_e32 v116, v193, v94
	v_fmac_f16_e32 v186, v113, v47
	v_add_f16_e32 v113, v177, v112
	v_pack_b32_f16 v96, v179, v96
	v_fmac_f16_e32 v195, v180, v48
	ds_write_b32 v167, v165
	v_add_f16_e32 v116, v116, v115
	v_add_f16_e32 v113, v113, v181
	v_add_f16_e32 v165, v194, v114
	v_lshrrev_b32_e32 v179, 16, v194
	ds_write_b32 v167, v96 offset:1800
	ds_write_b32 v167, v45 offset:3600
	v_add_f16_e32 v180, v114, v178
	v_pack_b32_f16 v96, v116, v113
	v_add_f16_e32 v113, v165, v178
	v_add_f16_e32 v116, v112, v181
	;; [unrolled: 1-line block ×3, first 2 shown]
	v_sub_f16_e32 v94, v94, v115
	v_add_f16_e32 v115, v186, v195
	v_add_f16_e32 v45, v179, v186
	v_sub_f16_e32 v112, v112, v181
	v_fmac_f16_e32 v177, -0.5, v116
	v_fma_f16 v116, -0.5, v165, v193
	v_fmac_f16_e32 v194, -0.5, v180
	v_sub_f16_e32 v180, v186, v195
	v_fmac_f16_e32 v179, -0.5, v115
	v_sub_f16_e32 v114, v114, v178
	v_add_f16_e32 v45, v45, v195
	v_fmamk_f16 v181, v112, 0x3aee, v116
	v_fmamk_f16 v186, v94, 0xbaee, v177
	;; [unrolled: 1-line block ×4, first 2 shown]
	v_fmac_f16_e32 v194, 0xbaee, v180
	v_fmac_f16_e32 v179, 0x3aee, v114
	;; [unrolled: 1-line block ×4, first 2 shown]
	v_pack_b32_f16 v45, v113, v45
	v_add_nc_u32_e32 v165, 0x1600, v153
	v_pack_b32_f16 v113, v181, v186
	v_pack_b32_f16 v94, v115, v178
	;; [unrolled: 1-line block ×4, first 2 shown]
	v_add_nc_u32_e32 v177, 0x2400, v153
	v_lshrrev_b32_e32 v112, 16, v210
	v_lshrrev_b32_e32 v115, 16, v211
	ds_write2_b32 v165, v96, v45 offset0:32 offset1:167
	ds_write2_b32 v158, v113, v94 offset0:98 offset1:233
	;; [unrolled: 1-line block ×3, first 2 shown]
	v_mul_f16_sdwa v114, v211, v37 dst_sel:DWORD dst_unused:UNUSED_PAD src0_sel:DWORD src1_sel:WORD_1
	v_lshrrev_b32_e32 v116, 16, v213
	v_mul_f16_sdwa v178, v112, v51 dst_sel:DWORD dst_unused:UNUSED_PAD src0_sel:DWORD src1_sel:WORD_1
	v_mul_f16_sdwa v45, v115, v37 dst_sel:DWORD dst_unused:UNUSED_PAD src0_sel:DWORD src1_sel:WORD_1
	v_mul_f16_sdwa v96, v210, v51 dst_sel:DWORD dst_unused:UNUSED_PAD src0_sel:DWORD src1_sel:WORD_1
	v_lshrrev_b32_e32 v113, 16, v212
	v_fmac_f16_e32 v114, v115, v37
	v_mul_f16_sdwa v115, v116, v38 dst_sel:DWORD dst_unused:UNUSED_PAD src0_sel:DWORD src1_sel:WORD_1
	v_mul_f16_sdwa v194, v213, v38 dst_sel:DWORD dst_unused:UNUSED_PAD src0_sel:DWORD src1_sel:WORD_1
	v_fma_f16 v94, v210, v51, -v178
	v_fma_f16 v45, v211, v37, -v45
	v_fmac_f16_e32 v96, v112, v51
	v_mul_f16_sdwa v112, v212, v52 dst_sel:DWORD dst_unused:UNUSED_PAD src0_sel:DWORD src1_sel:WORD_1
	v_mul_f16_sdwa v178, v113, v52 dst_sel:DWORD dst_unused:UNUSED_PAD src0_sel:DWORD src1_sel:WORD_1
	v_lshrrev_b32_e32 v179, 16, v216
	v_fma_f16 v115, v213, v38, -v115
	v_lshrrev_b32_e32 v181, 16, v218
	v_mul_f16_sdwa v205, v216, v35 dst_sel:DWORD dst_unused:UNUSED_PAD src0_sel:DWORD src1_sel:WORD_1
	v_mul_f16_sdwa v207, v218, v36 dst_sel:DWORD dst_unused:UNUSED_PAD src0_sel:DWORD src1_sel:WORD_1
	v_fmac_f16_e32 v194, v116, v38
	v_fmac_f16_e32 v112, v113, v52
	v_fma_f16 v113, v212, v52, -v178
	v_mul_f16_sdwa v180, v179, v35 dst_sel:DWORD dst_unused:UNUSED_PAD src0_sel:DWORD src1_sel:WORD_1
	v_mul_f16_sdwa v195, v181, v36 dst_sel:DWORD dst_unused:UNUSED_PAD src0_sel:DWORD src1_sel:WORD_1
	v_fmac_f16_e32 v205, v179, v35
	v_add_f16_e32 v116, v45, v115
	v_fmac_f16_e32 v207, v181, v36
	v_lshrrev_b32_e32 v179, 16, v209
	v_add_f16_e32 v181, v114, v194
	v_lshrrev_b32_e32 v178, 16, v217
	v_lshrrev_b32_e32 v186, 16, v219
	v_mul_f16_sdwa v206, v217, v31 dst_sel:DWORD dst_unused:UNUSED_PAD src0_sel:DWORD src1_sel:WORD_1
	v_mul_f16_sdwa v210, v219, v32 dst_sel:DWORD dst_unused:UNUSED_PAD src0_sel:DWORD src1_sel:WORD_1
	v_add_f16_e32 v211, v209, v45
	v_fmac_f16_e32 v209, -0.5, v116
	v_sub_f16_e32 v116, v114, v194
	v_add_f16_e32 v114, v179, v114
	v_fmac_f16_e32 v179, -0.5, v181
	v_sub_f16_e32 v45, v45, v115
	v_add_f16_e32 v181, v94, v113
	v_mul_f16_sdwa v193, v178, v31 dst_sel:DWORD dst_unused:UNUSED_PAD src0_sel:DWORD src1_sel:WORD_1
	v_mul_f16_sdwa v204, v186, v32 dst_sel:DWORD dst_unused:UNUSED_PAD src0_sel:DWORD src1_sel:WORD_1
	v_fmac_f16_e32 v206, v178, v31
	v_fmamk_f16 v178, v116, 0x3aee, v209
	v_fmac_f16_e32 v209, 0xbaee, v116
	v_fmamk_f16 v116, v45, 0xbaee, v179
	v_fmac_f16_e32 v179, 0x3aee, v45
	v_fmac_f16_e32 v210, v186, v32
	v_fma_f16 v45, -0.5, v181, v208
	v_lshrrev_b32_e32 v186, 16, v208
	v_add_f16_e32 v181, v96, v112
	v_fma_f16 v193, v217, v31, -v193
	v_fma_f16 v204, v219, v32, -v204
	v_pack_b32_f16 v179, v209, v179
	v_add_f16_e32 v208, v208, v94
	v_sub_f16_e32 v209, v96, v112
	v_add_f16_e32 v96, v186, v96
	v_fmac_f16_e32 v186, -0.5, v181
	v_sub_f16_e32 v94, v94, v113
	v_fma_f16 v180, v216, v35, -v180
	v_fma_f16 v195, v218, v36, -v195
	v_add_f16_e32 v113, v208, v113
	v_fmamk_f16 v181, v209, 0x3aee, v45
	v_fmac_f16_e32 v45, 0xbaee, v209
	v_add_f16_e32 v96, v96, v112
	v_fmamk_f16 v112, v94, 0xbaee, v186
	v_add_f16_e32 v208, v193, v204
	v_fmac_f16_e32 v186, 0x3aee, v94
	v_lshrrev_b32_e32 v94, 16, v215
	v_add_f16_e32 v209, v206, v210
	v_add_f16_e32 v212, v215, v193
	v_fmac_f16_e32 v215, -0.5, v208
	v_sub_f16_e32 v208, v206, v210
	v_add_f16_e32 v206, v94, v206
	v_fmac_f16_e32 v94, -0.5, v209
	v_sub_f16_e32 v193, v193, v204
	v_add_f16_e32 v115, v211, v115
	v_add_f16_e32 v211, v180, v195
	;; [unrolled: 1-line block ×3, first 2 shown]
	v_lshrrev_b32_e32 v194, 16, v214
	v_fmamk_f16 v209, v208, 0x3aee, v215
	v_fmac_f16_e32 v215, 0xbaee, v208
	v_fmamk_f16 v208, v193, 0xbaee, v94
	v_fmac_f16_e32 v94, 0x3aee, v193
	v_fma_f16 v193, -0.5, v211, v214
	v_add_f16_e32 v211, v205, v207
	v_add_f16_e32 v213, v214, v180
	v_sub_f16_e32 v214, v205, v207
	v_add_f16_e32 v205, v194, v205
	v_sub_f16_e32 v180, v180, v195
	v_fmac_f16_e32 v194, -0.5, v211
	v_add_f16_e32 v195, v213, v195
	v_pack_b32_f16 v96, v113, v96
	v_add_f16_e32 v205, v205, v207
	v_pack_b32_f16 v112, v181, v112
	v_lshlrev_b32_sdwa v181, v46, v88 dst_sel:DWORD dst_unused:UNUSED_PAD src0_sel:DWORD src1_sel:WORD_0
	v_fmamk_f16 v211, v214, 0x3aee, v193
	v_fmamk_f16 v207, v180, 0xbaee, v194
	v_fmac_f16_e32 v193, 0xbaee, v214
	v_fmac_f16_e32 v194, 0x3aee, v180
	v_pack_b32_f16 v45, v45, v186
	v_add_f16_e32 v90, v212, v204
	v_add_f16_e32 v204, v206, v210
	v_pack_b32_f16 v88, v115, v114
	v_lshlrev_b32_sdwa v180, v46, v76 dst_sel:DWORD dst_unused:UNUSED_PAD src0_sel:DWORD src1_sel:WORD_0
	v_pack_b32_f16 v76, v178, v116
	ds_write_b32 v181, v96
	ds_write_b32 v181, v112 offset:1800
	ds_write_b32 v181, v45 offset:3600
	;; [unrolled: 1-line block ×5, first 2 shown]
	v_pack_b32_f16 v45, v195, v205
	v_lshlrev_b32_sdwa v179, v46, v78 dst_sel:DWORD dst_unused:UNUSED_PAD src0_sel:DWORD src1_sel:WORD_0
	v_pack_b32_f16 v76, v211, v207
	v_pack_b32_f16 v78, v193, v194
	v_lshlrev_b32_sdwa v178, v46, v80 dst_sel:DWORD dst_unused:UNUSED_PAD src0_sel:DWORD src1_sel:WORD_0
	v_pack_b32_f16 v46, v90, v204
	v_pack_b32_f16 v80, v209, v208
	;; [unrolled: 1-line block ×3, first 2 shown]
	ds_write_b32 v179, v45 offset:10800
	ds_write_b32 v179, v76 offset:12600
	;; [unrolled: 1-line block ×6, first 2 shown]
	v_add_co_u32 v45, vcc_lo, 0x1000, v50
	v_add_co_ci_u32_e32 v46, vcc_lo, 0, v75, vcc_lo
	v_add_co_u32 v75, s0, s2, v49
	v_add_co_ci_u32_e64 v76, null, s3, 0, s0
	s_waitcnt lgkmcnt(0)
	s_barrier
	buffer_gl0_inv
	global_load_dwordx2 v[49:50], v[45:46], off offset:1264
	v_add_co_u32 v45, vcc_lo, 0x1000, v75
	v_add_co_ci_u32_e32 v46, vcc_lo, 0, v76, vcc_lo
	v_add_co_u32 v74, s0, s2, v74
	v_add_co_ci_u32_e64 v75, null, s3, 0, s0
	global_load_dwordx2 v[45:46], v[45:46], off offset:1264
	v_add_co_u32 v74, vcc_lo, 0x1000, v74
	v_add_co_ci_u32_e32 v75, vcc_lo, 0, v75, vcc_lo
	v_add_co_u32 v73, s0, s2, v73
	global_load_dwordx2 v[75:76], v[74:75], off offset:1264
	v_add_co_ci_u32_e64 v74, null, s3, 0, s0
	v_add_co_u32 v73, vcc_lo, 0x1000, v73
	v_add_co_u32 v77, s0, s2, v77
	v_add_co_ci_u32_e32 v74, vcc_lo, 0, v74, vcc_lo
	v_add_co_ci_u32_e64 v78, null, s3, 0, s0
	v_add_co_u32 v77, vcc_lo, 0x1000, v77
	global_load_dwordx2 v[73:74], v[73:74], off offset:1264
	v_add_co_ci_u32_e32 v78, vcc_lo, 0, v78, vcc_lo
	v_add_co_u32 v79, s0, s2, v79
	v_add_co_ci_u32_e64 v80, null, s3, 0, s0
	global_load_dwordx2 v[77:78], v[77:78], off offset:1264
	v_add_co_u32 v79, vcc_lo, 0x1000, v79
	v_add_co_ci_u32_e32 v80, vcc_lo, 0, v80, vcc_lo
	v_add_co_u32 v87, s0, s2, v87
	v_add_co_ci_u32_e64 v88, null, s3, 0, s0
	global_load_dwordx2 v[79:80], v[79:80], off offset:1264
	v_add_co_u32 v87, vcc_lo, 0x1000, v87
	;; [unrolled: 5-line block ×5, first 2 shown]
	v_add_co_ci_u32_e32 v96, vcc_lo, 0, v96, vcc_lo
	s_mov_b32 s2, 0xc0898b71
	s_mov_b32 s3, 0x3f302e85
	global_load_dwordx2 v[95:96], v[95:96], off offset:1264
	ds_read2_b32 v[112:113], v143 offset0:70 offset1:205
	ds_read2_b32 v[114:115], v156 offset0:12 offset1:147
	ds_read2_b32 v[193:194], v153 offset1:135
	s_waitcnt lgkmcnt(2)
	v_lshrrev_b32_e32 v116, 16, v112
	s_waitcnt lgkmcnt(1)
	v_lshrrev_b32_e32 v195, 16, v114
	v_lshrrev_b32_e32 v204, 16, v113
	s_waitcnt lgkmcnt(0)
	v_lshrrev_b32_e32 v227, 16, v194
	s_waitcnt vmcnt(9)
	v_mul_f16_sdwa v186, v112, v49 dst_sel:DWORD dst_unused:UNUSED_PAD src0_sel:DWORD src1_sel:WORD_1
	v_mul_f16_sdwa v205, v116, v49 dst_sel:DWORD dst_unused:UNUSED_PAD src0_sel:DWORD src1_sel:WORD_1
	v_mul_f16_sdwa v206, v195, v50 dst_sel:DWORD dst_unused:UNUSED_PAD src0_sel:DWORD src1_sel:WORD_1
	v_fmac_f16_e32 v186, v116, v49
	v_lshrrev_b32_e32 v116, 16, v115
	v_fma_f16 v112, v112, v49, -v205
	v_mul_f16_sdwa v205, v114, v50 dst_sel:DWORD dst_unused:UNUSED_PAD src0_sel:DWORD src1_sel:WORD_1
	s_waitcnt vmcnt(8)
	v_mul_f16_sdwa v207, v204, v45 dst_sel:DWORD dst_unused:UNUSED_PAD src0_sel:DWORD src1_sel:WORD_1
	v_fma_f16 v114, v114, v50, -v206
	v_mul_f16_sdwa v208, v116, v46 dst_sel:DWORD dst_unused:UNUSED_PAD src0_sel:DWORD src1_sel:WORD_1
	v_mul_f16_sdwa v225, v113, v45 dst_sel:DWORD dst_unused:UNUSED_PAD src0_sel:DWORD src1_sel:WORD_1
	v_fmac_f16_e32 v205, v195, v50
	v_fma_f16 v224, v113, v45, -v207
	v_add_f16_e32 v113, v112, v114
	v_fma_f16 v195, v115, v46, -v208
	v_mul_f16_sdwa v226, v115, v46 dst_sel:DWORD dst_unused:UNUSED_PAD src0_sel:DWORD src1_sel:WORD_1
	v_lshrrev_b32_e32 v206, 16, v193
	v_add_f16_e32 v115, v186, v205
	v_add_f16_e32 v207, v193, v112
	v_fma_f16 v193, -0.5, v113, v193
	v_sub_f16_e32 v113, v186, v205
	v_add_f16_e32 v186, v206, v186
	v_fmac_f16_e32 v206, -0.5, v115
	v_sub_f16_e32 v112, v112, v114
	v_add_f16_e32 v115, v207, v114
	v_fmamk_f16 v114, v113, 0x3aee, v193
	v_fmac_f16_e32 v225, v204, v45
	v_fmac_f16_e32 v193, 0xbaee, v113
	v_add_f16_e32 v113, v186, v205
	v_fmamk_f16 v204, v112, 0xbaee, v206
	v_fmac_f16_e32 v206, 0x3aee, v112
	v_fmac_f16_e32 v226, v116, v46
	v_add_f16_e32 v116, v194, v224
	v_pack_b32_f16 v228, v115, v113
	v_pack_b32_f16 v229, v114, v204
	ds_read2_b32 v[112:113], v159 offset0:84 offset1:219
	ds_read2_b32 v[114:115], v137 offset0:26 offset1:161
	v_add_f16_e32 v186, v227, v225
	v_add_f16_e32 v116, v116, v195
	v_pack_b32_f16 v193, v193, v206
	ds_read2_b32 v[204:205], v162 offset0:14 offset1:149
	ds_read2_b32 v[206:207], v146 offset0:28 offset1:163
	;; [unrolled: 1-line block ×10, first 2 shown]
	v_add_f16_e32 v186, v186, v226
	v_pack_b32_f16 v116, v116, v186
	v_add_f16_e32 v186, v224, v195
	ds_write_b32 v153, v229 offset:5400
	ds_write_b32 v153, v193 offset:10800
	ds_write2_b32 v153, v228, v116 offset1:135
	v_add_f16_e32 v116, v225, v226
	v_sub_f16_e32 v225, v225, v226
	v_fmac_f16_e32 v194, -0.5, v186
	s_waitcnt lgkmcnt(14)
	v_lshrrev_b32_e32 v186, 16, v112
	s_waitcnt lgkmcnt(13)
	v_lshrrev_b32_e32 v193, 16, v114
	v_fmac_f16_e32 v227, -0.5, v116
	v_sub_f16_e32 v116, v224, v195
	s_waitcnt vmcnt(7)
	v_mul_f16_sdwa v226, v112, v75 dst_sel:DWORD dst_unused:UNUSED_PAD src0_sel:DWORD src1_sel:WORD_1
	v_mul_f16_sdwa v195, v186, v75 dst_sel:DWORD dst_unused:UNUSED_PAD src0_sel:DWORD src1_sel:WORD_1
	;; [unrolled: 1-line block ×4, first 2 shown]
	v_fmamk_f16 v229, v225, 0x3aee, v194
	v_fmac_f16_e32 v226, v186, v75
	v_fma_f16 v112, v112, v75, -v195
	v_fma_f16 v114, v114, v76, -v224
	v_fmac_f16_e32 v228, v193, v76
	v_fmac_f16_e32 v194, 0xbaee, v225
	s_waitcnt lgkmcnt(12)
	v_lshrrev_b32_e32 v186, 16, v204
	v_fmamk_f16 v195, v116, 0xbaee, v227
	v_add_f16_e32 v193, v112, v114
	v_add_f16_e32 v224, v226, v228
	v_fmac_f16_e32 v227, 0x3aee, v116
	v_add_f16_e32 v116, v186, v226
	v_sub_f16_e32 v225, v226, v228
	v_fma_f16 v193, -0.5, v193, v204
	v_fmac_f16_e32 v186, -0.5, v224
	v_sub_f16_e32 v224, v112, v114
	v_pack_b32_f16 v226, v194, v227
	v_lshrrev_b32_e32 v227, 16, v113
	v_pack_b32_f16 v195, v229, v195
	v_fmamk_f16 v194, v225, 0x3aee, v193
	v_fmamk_f16 v229, v224, 0xbaee, v186
	v_fmac_f16_e32 v193, 0xbaee, v225
	v_fmac_f16_e32 v186, 0x3aee, v224
	v_lshrrev_b32_e32 v224, 16, v115
	s_waitcnt vmcnt(6)
	v_mul_f16_sdwa v225, v227, v73 dst_sel:DWORD dst_unused:UNUSED_PAD src0_sel:DWORD src1_sel:WORD_1
	v_mul_f16_sdwa v230, v113, v73 dst_sel:DWORD dst_unused:UNUSED_PAD src0_sel:DWORD src1_sel:WORD_1
	v_add_f16_e32 v112, v204, v112
	v_pack_b32_f16 v186, v193, v186
	v_mul_f16_sdwa v193, v224, v74 dst_sel:DWORD dst_unused:UNUSED_PAD src0_sel:DWORD src1_sel:WORD_1
	v_fma_f16 v113, v113, v73, -v225
	v_mul_f16_sdwa v225, v115, v74 dst_sel:DWORD dst_unused:UNUSED_PAD src0_sel:DWORD src1_sel:WORD_1
	v_fmac_f16_e32 v230, v227, v73
	v_lshrrev_b32_e32 v227, 16, v205
	v_fma_f16 v115, v115, v74, -v193
	v_add_f16_e32 v193, v205, v113
	v_fmac_f16_e32 v225, v224, v74
	v_pack_b32_f16 v229, v194, v229
	v_add_f16_e32 v204, v227, v230
	v_add_f16_e32 v112, v112, v114
	;; [unrolled: 1-line block ×4, first 2 shown]
	v_add_nc_u32_e32 v194, 0x2c00, v153
	v_add_f16_e32 v193, v204, v225
	ds_write2_b32 v165, v195, v229 offset0:77 offset1:212
	ds_write2_b32 v194, v226, v186 offset0:19 offset1:154
	v_add_f16_e32 v186, v113, v115
	v_pack_b32_f16 v112, v112, v114
	v_pack_b32_f16 v114, v116, v193
	s_waitcnt lgkmcnt(12)
	v_lshrrev_b32_e32 v116, 16, v208
	s_waitcnt lgkmcnt(11)
	v_lshrrev_b32_e32 v193, 16, v210
	v_fmac_f16_e32 v205, -0.5, v186
	s_waitcnt vmcnt(5)
	v_mul_f16_sdwa v186, v208, v77 dst_sel:DWORD dst_unused:UNUSED_PAD src0_sel:DWORD src1_sel:WORD_1
	v_mul_f16_sdwa v195, v210, v78 dst_sel:DWORD dst_unused:UNUSED_PAD src0_sel:DWORD src1_sel:WORD_1
	;; [unrolled: 1-line block ×4, first 2 shown]
	v_add_f16_e32 v226, v230, v225
	v_fmac_f16_e32 v186, v116, v77
	v_fmac_f16_e32 v195, v193, v78
	v_fma_f16 v116, v208, v77, -v204
	v_fma_f16 v193, v210, v78, -v224
	v_lshrrev_b32_e32 v208, 16, v206
	v_sub_f16_e32 v204, v230, v225
	v_add_f16_e32 v210, v186, v195
	v_fmac_f16_e32 v227, -0.5, v226
	v_add_f16_e32 v224, v116, v193
	v_sub_f16_e32 v113, v113, v115
	v_add_f16_e32 v225, v208, v186
	v_fmac_f16_e32 v208, -0.5, v210
	v_sub_f16_e32 v186, v186, v195
	v_fma_f16 v210, -0.5, v224, v206
	v_sub_f16_e32 v224, v116, v193
	v_fmamk_f16 v115, v204, 0x3aee, v205
	v_fmac_f16_e32 v205, 0xbaee, v204
	v_fmamk_f16 v204, v113, 0xbaee, v227
	v_fmac_f16_e32 v227, 0x3aee, v113
	v_fmamk_f16 v113, v186, 0x3aee, v210
	v_fmamk_f16 v226, v224, 0xbaee, v208
	v_fmac_f16_e32 v210, 0xbaee, v186
	v_fmac_f16_e32 v208, 0x3aee, v224
	v_pack_b32_f16 v115, v115, v204
	v_lshrrev_b32_e32 v204, 16, v209
	v_pack_b32_f16 v113, v113, v226
	ds_write2_b32 v162, v112, v114 offset0:14 offset1:149
	v_pack_b32_f16 v208, v210, v208
	v_lshrrev_b32_e32 v210, 16, v211
	s_waitcnt vmcnt(4)
	v_mul_f16_sdwa v112, v204, v79 dst_sel:DWORD dst_unused:UNUSED_PAD src0_sel:DWORD src1_sel:WORD_1
	ds_write2_b32 v163, v115, v113 offset0:91 offset1:226
	v_add_f16_e32 v114, v206, v116
	v_mul_f16_sdwa v115, v209, v79 dst_sel:DWORD dst_unused:UNUSED_PAD src0_sel:DWORD src1_sel:WORD_1
	v_mul_f16_sdwa v113, v210, v80 dst_sel:DWORD dst_unused:UNUSED_PAD src0_sel:DWORD src1_sel:WORD_1
	v_fma_f16 v112, v209, v79, -v112
	v_mul_f16_sdwa v116, v211, v80 dst_sel:DWORD dst_unused:UNUSED_PAD src0_sel:DWORD src1_sel:WORD_1
	v_pack_b32_f16 v205, v205, v227
	v_add_nc_u32_e32 v186, 0x3000, v153
	v_fma_f16 v113, v211, v80, -v113
	v_add_f16_e32 v114, v114, v193
	v_add_f16_e32 v193, v225, v195
	v_fmac_f16_e32 v115, v204, v79
	v_lshrrev_b32_e32 v195, 16, v207
	v_fmac_f16_e32 v116, v210, v80
	v_add_f16_e32 v204, v112, v113
	ds_write2_b32 v186, v205, v208 offset0:33 offset1:168
	v_pack_b32_f16 v114, v114, v193
	v_add_f16_e32 v193, v207, v112
	v_add_f16_e32 v205, v195, v115
	;; [unrolled: 1-line block ×3, first 2 shown]
	v_fmac_f16_e32 v207, -0.5, v204
	v_sub_f16_e32 v115, v115, v116
	v_add_f16_e32 v193, v193, v113
	v_add_f16_e32 v116, v205, v116
	v_fmac_f16_e32 v195, -0.5, v206
	v_sub_f16_e32 v112, v112, v113
	v_fmamk_f16 v113, v115, 0x3aee, v207
	s_waitcnt lgkmcnt(12)
	v_lshrrev_b32_e32 v204, 16, v214
	s_waitcnt lgkmcnt(11)
	v_lshrrev_b32_e32 v205, 16, v216
	v_fmac_f16_e32 v207, 0xbaee, v115
	s_waitcnt vmcnt(3)
	v_mul_f16_sdwa v115, v214, v87 dst_sel:DWORD dst_unused:UNUSED_PAD src0_sel:DWORD src1_sel:WORD_1
	v_mul_f16_sdwa v206, v216, v88 dst_sel:DWORD dst_unused:UNUSED_PAD src0_sel:DWORD src1_sel:WORD_1
	;; [unrolled: 1-line block ×4, first 2 shown]
	v_fmamk_f16 v210, v112, 0xbaee, v195
	v_fmac_f16_e32 v115, v204, v87
	v_fmac_f16_e32 v206, v205, v88
	;; [unrolled: 1-line block ×3, first 2 shown]
	v_fma_f16 v205, v216, v88, -v209
	v_lshrrev_b32_e32 v112, 16, v212
	v_pack_b32_f16 v116, v193, v116
	v_add_f16_e32 v193, v115, v206
	v_lshrrev_b32_e32 v209, 16, v215
	v_fma_f16 v204, v214, v87, -v208
	v_pack_b32_f16 v195, v207, v195
	v_add_f16_e32 v207, v112, v115
	v_fmac_f16_e32 v112, -0.5, v193
	v_lshrrev_b32_e32 v193, 16, v217
	s_waitcnt vmcnt(2)
	v_mul_f16_sdwa v211, v209, v89 dst_sel:DWORD dst_unused:UNUSED_PAD src0_sel:DWORD src1_sel:WORD_1
	v_mul_f16_sdwa v216, v215, v89 dst_sel:DWORD dst_unused:UNUSED_PAD src0_sel:DWORD src1_sel:WORD_1
	v_add_f16_e32 v208, v204, v205
	v_sub_f16_e32 v115, v115, v206
	v_mul_f16_sdwa v225, v193, v90 dst_sel:DWORD dst_unused:UNUSED_PAD src0_sel:DWORD src1_sel:WORD_1
	v_fma_f16 v211, v215, v89, -v211
	v_mul_f16_sdwa v215, v217, v90 dst_sel:DWORD dst_unused:UNUSED_PAD src0_sel:DWORD src1_sel:WORD_1
	v_fmac_f16_e32 v216, v209, v89
	v_lshrrev_b32_e32 v209, 16, v213
	v_fma_f16 v208, -0.5, v208, v212
	v_sub_f16_e32 v214, v204, v205
	v_fma_f16 v217, v217, v90, -v225
	v_add_f16_e32 v204, v212, v204
	v_fmac_f16_e32 v215, v193, v90
	v_add_f16_e32 v193, v213, v211
	v_add_f16_e32 v212, v209, v216
	v_fmamk_f16 v224, v115, 0x3aee, v208
	v_fmamk_f16 v225, v214, 0xbaee, v112
	v_add_f16_e32 v204, v204, v205
	v_add_f16_e32 v205, v207, v206
	;; [unrolled: 1-line block ×4, first 2 shown]
	v_pack_b32_f16 v113, v113, v210
	v_pack_b32_f16 v210, v224, v225
	v_add_nc_u32_e32 v193, 0x1e00, v153
	v_pack_b32_f16 v204, v204, v205
	v_pack_b32_f16 v205, v206, v207
	ds_write2_b32 v146, v114, v116 offset0:28 offset1:163
	ds_write_b32 v153, v195 offset:13500
	ds_write2_b32 v193, v113, v210 offset0:105 offset1:240
	ds_write2_b32 v161, v204, v205 offset0:42 offset1:177
	v_add_f16_e32 v113, v216, v215
	s_waitcnt lgkmcnt(13)
	v_lshrrev_b32_e32 v116, 16, v220
	s_waitcnt lgkmcnt(12)
	v_lshrrev_b32_e32 v195, 16, v222
	v_add_f16_e32 v114, v211, v217
	s_waitcnt vmcnt(1)
	v_mul_f16_sdwa v204, v222, v94 dst_sel:DWORD dst_unused:UNUSED_PAD src0_sel:DWORD src1_sel:WORD_1
	v_fmac_f16_e32 v209, -0.5, v113
	v_mul_f16_sdwa v113, v220, v93 dst_sel:DWORD dst_unused:UNUSED_PAD src0_sel:DWORD src1_sel:WORD_1
	v_mul_f16_sdwa v205, v116, v93 dst_sel:DWORD dst_unused:UNUSED_PAD src0_sel:DWORD src1_sel:WORD_1
	v_mul_f16_sdwa v206, v195, v94 dst_sel:DWORD dst_unused:UNUSED_PAD src0_sel:DWORD src1_sel:WORD_1
	v_fmac_f16_e32 v213, -0.5, v114
	v_sub_f16_e32 v114, v216, v215
	v_fmac_f16_e32 v113, v116, v93
	v_fmac_f16_e32 v204, v195, v94
	v_fma_f16 v116, v220, v93, -v205
	v_fma_f16 v195, v222, v94, -v206
	v_sub_f16_e32 v207, v211, v217
	v_fmamk_f16 v205, v114, 0x3aee, v213
	v_fmac_f16_e32 v213, 0xbaee, v114
	v_lshrrev_b32_e32 v114, 16, v218
	v_add_f16_e32 v206, v113, v204
	v_add_f16_e32 v210, v116, v195
	v_fmamk_f16 v211, v207, 0xbaee, v209
	v_fmac_f16_e32 v209, 0x3aee, v207
	v_add_f16_e32 v207, v114, v113
	v_fmac_f16_e32 v114, -0.5, v206
	v_fma_f16 v206, -0.5, v210, v218
	v_sub_f16_e32 v113, v113, v204
	v_sub_f16_e32 v210, v116, v195
	v_pack_b32_f16 v209, v213, v209
	v_fmac_f16_e32 v208, 0xbaee, v115
	v_fmac_f16_e32 v112, 0x3aee, v214
	v_fmamk_f16 v115, v113, 0x3aee, v206
	v_fmamk_f16 v212, v210, 0xbaee, v114
	v_lshrrev_b32_e32 v213, 16, v221
	v_lshrrev_b32_e32 v214, 16, v223
	v_pack_b32_f16 v112, v208, v112
	v_pack_b32_f16 v205, v205, v211
	;; [unrolled: 1-line block ×3, first 2 shown]
	s_waitcnt vmcnt(0)
	v_mul_f16_sdwa v208, v213, v95 dst_sel:DWORD dst_unused:UNUSED_PAD src0_sel:DWORD src1_sel:WORD_1
	v_mul_f16_sdwa v211, v214, v96 dst_sel:DWORD dst_unused:UNUSED_PAD src0_sel:DWORD src1_sel:WORD_1
	;; [unrolled: 1-line block ×4, first 2 shown]
	v_add_f16_e32 v116, v218, v116
	v_fma_f16 v208, v221, v95, -v208
	v_fma_f16 v211, v223, v96, -v211
	v_fmac_f16_e32 v212, v213, v95
	v_fmac_f16_e32 v215, v214, v96
	v_lshrrev_b32_e32 v213, 16, v219
	v_add_f16_e32 v116, v116, v195
	v_add_f16_e32 v195, v208, v211
	;; [unrolled: 1-line block ×6, first 2 shown]
	v_fmac_f16_e32 v219, -0.5, v195
	v_sub_f16_e32 v195, v212, v215
	v_fmac_f16_e32 v213, -0.5, v207
	v_sub_f16_e32 v207, v208, v211
	v_add_f16_e32 v208, v214, v211
	v_add_f16_e32 v211, v216, v215
	v_fmamk_f16 v212, v195, 0x3aee, v219
	v_fmac_f16_e32 v219, 0xbaee, v195
	v_fmamk_f16 v214, v207, 0xbaee, v213
	v_fmac_f16_e32 v213, 0x3aee, v207
	v_fmac_f16_e32 v206, 0xbaee, v113
	;; [unrolled: 1-line block ×3, first 2 shown]
	v_add_nc_u32_e32 v195, 0x2200, v153
	v_pack_b32_f16 v113, v116, v204
	v_pack_b32_f16 v116, v208, v211
	;; [unrolled: 1-line block ×5, first 2 shown]
	ds_write2_b32 v150, v112, v209 offset0:54 offset1:189
	ds_write2_b32 v195, v205, v115 offset0:119 offset1:254
	;; [unrolled: 1-line block ×4, first 2 shown]
	ds_write_b32 v153, v206 offset:10260
	s_waitcnt lgkmcnt(0)
	s_barrier
	buffer_gl0_inv
	global_load_dword v25, v[25:26], off offset:1864
	v_add_co_u32 v112, vcc_lo, 0x3f48, v107
	v_add_co_ci_u32_e32 v113, vcc_lo, 0, v108, vcc_lo
	v_add_co_u32 v114, vcc_lo, 0x4000, v107
	v_add_co_ci_u32_e32 v115, vcc_lo, 0, v108, vcc_lo
	s_clause 0x1
	global_load_dword v116, v[112:113], off offset:1620
	global_load_dword v210, v[114:115], off offset:1976
	v_add_co_u32 v114, vcc_lo, 0x5000, v107
	v_add_co_ci_u32_e32 v115, vcc_lo, 0, v108, vcc_lo
	s_clause 0x1
	global_load_dword v211, v[114:115], off offset:580
	global_load_dword v212, v[114:115], off offset:1120
	;; [unrolled: 5-line block ×4, first 2 shown]
	global_load_dword v217, v[206:207], off offset:1008
	global_load_dword v218, v[206:207], off offset:1548
	;; [unrolled: 1-line block ×4, first 2 shown]
	v_add_co_u32 v112, vcc_lo, 0x6000, v107
	v_add_co_ci_u32_e32 v113, vcc_lo, 0, v108, vcc_lo
	v_add_co_u32 v206, vcc_lo, 0x6800, v107
	v_add_co_ci_u32_e32 v207, vcc_lo, 0, v108, vcc_lo
	s_clause 0x1
	global_load_dword v221, v[112:113], off offset:1884
	global_load_dword v222, v[206:207], off offset:376
	v_add_co_u32 v208, vcc_lo, 0x7000, v107
	v_add_co_ci_u32_e32 v209, vcc_lo, 0, v108, vcc_lo
	s_clause 0x7
	global_load_dword v223, v[204:205], off offset:1140
	global_load_dword v224, v[208:209], off offset:1568
	;; [unrolled: 1-line block ×8, first 2 shown]
	v_add_co_u32 v107, vcc_lo, 0x5800, v107
	v_add_co_ci_u32_e32 v108, vcc_lo, 0, v108, vcc_lo
	s_clause 0x6
	global_load_dword v231, v[107:108], off offset:152
	global_load_dword v232, v[107:108], off offset:692
	;; [unrolled: 1-line block ×7, first 2 shown]
	ds_read2_b32 v[107:108], v153 offset1:135
	s_waitcnt lgkmcnt(0)
	v_lshrrev_b32_e32 v26, 16, v107
	s_waitcnt vmcnt(29)
	v_mul_f16_sdwa v112, v107, v25 dst_sel:DWORD dst_unused:UNUSED_PAD src0_sel:DWORD src1_sel:WORD_1
	v_mul_f16_sdwa v113, v26, v25 dst_sel:DWORD dst_unused:UNUSED_PAD src0_sel:DWORD src1_sel:WORD_1
	v_fmac_f16_e32 v112, v26, v25
	v_fma_f16 v25, v107, v25, -v113
	v_pack_b32_f16 v25, v25, v112
	ds_write_b32 v153, v25
	ds_read2_b32 v[25:26], v162 offset0:14 offset1:149
	ds_read2_b32 v[112:113], v146 offset0:28 offset1:163
	;; [unrolled: 1-line block ×4, first 2 shown]
	s_waitcnt lgkmcnt(3)
	v_lshrrev_b32_e32 v107, 16, v26
	s_waitcnt lgkmcnt(2)
	v_lshrrev_b32_e32 v208, 16, v112
	s_waitcnt vmcnt(28)
	v_mul_f16_sdwa v238, v26, v116 dst_sel:DWORD dst_unused:UNUSED_PAD src0_sel:DWORD src1_sel:WORD_1
	s_waitcnt vmcnt(27)
	v_mul_f16_sdwa v239, v112, v210 dst_sel:DWORD dst_unused:UNUSED_PAD src0_sel:DWORD src1_sel:WORD_1
	v_mul_f16_sdwa v206, v107, v116 dst_sel:DWORD dst_unused:UNUSED_PAD src0_sel:DWORD src1_sel:WORD_1
	;; [unrolled: 1-line block ×3, first 2 shown]
	v_fmac_f16_e32 v238, v107, v116
	v_fmac_f16_e32 v239, v208, v210
	v_fma_f16 v26, v26, v116, -v206
	ds_read2_b32 v[206:207], v150 offset0:54 offset1:189
	v_fma_f16 v107, v112, v210, -v209
	ds_read2_b32 v[208:209], v134 offset0:68 offset1:203
	s_waitcnt lgkmcnt(3)
	v_lshrrev_b32_e32 v112, 16, v115
	s_waitcnt lgkmcnt(2)
	v_lshrrev_b32_e32 v116, 16, v204
	v_pack_b32_f16 v26, v26, v238
	v_pack_b32_f16 v107, v107, v239
	s_waitcnt vmcnt(26)
	v_mul_f16_sdwa v210, v115, v211 dst_sel:DWORD dst_unused:UNUSED_PAD src0_sel:DWORD src1_sel:WORD_1
	v_mul_f16_sdwa v238, v112, v211 dst_sel:DWORD dst_unused:UNUSED_PAD src0_sel:DWORD src1_sel:WORD_1
	s_waitcnt vmcnt(25)
	v_mul_f16_sdwa v239, v204, v212 dst_sel:DWORD dst_unused:UNUSED_PAD src0_sel:DWORD src1_sel:WORD_1
	v_mul_f16_sdwa v240, v116, v212 dst_sel:DWORD dst_unused:UNUSED_PAD src0_sel:DWORD src1_sel:WORD_1
	ds_write2_b32 v241, v26, v107 offset0:21 offset1:156
	v_fmac_f16_e32 v210, v112, v211
	v_fma_f16 v112, v115, v211, -v238
	v_fmac_f16_e32 v239, v116, v212
	v_fma_f16 v115, v204, v212, -v240
	v_add_nc_u32_e32 v211, 0x1200, v153
	v_pack_b32_f16 v107, v112, v210
	s_waitcnt lgkmcnt(2)
	v_lshrrev_b32_e32 v26, 16, v207
	v_pack_b32_f16 v112, v115, v239
	s_waitcnt vmcnt(24)
	v_mul_f16_sdwa v210, v207, v213 dst_sel:DWORD dst_unused:UNUSED_PAD src0_sel:DWORD src1_sel:WORD_1
	s_waitcnt lgkmcnt(1)
	v_lshrrev_b32_e32 v204, 16, v208
	s_waitcnt vmcnt(23)
	v_mul_f16_sdwa v212, v208, v214 dst_sel:DWORD dst_unused:UNUSED_PAD src0_sel:DWORD src1_sel:WORD_1
	v_mul_f16_sdwa v115, v26, v213 dst_sel:DWORD dst_unused:UNUSED_PAD src0_sel:DWORD src1_sel:WORD_1
	ds_write2_b32 v211, v107, v112 offset0:63 offset1:198
	v_fmac_f16_e32 v210, v26, v213
	v_mul_f16_sdwa v238, v204, v214 dst_sel:DWORD dst_unused:UNUSED_PAD src0_sel:DWORD src1_sel:WORD_1
	v_lshrrev_b32_e32 v107, 16, v25
	v_fma_f16 v26, v207, v213, -v115
	ds_read2_b32 v[115:116], v161 offset0:42 offset1:177
	v_fmac_f16_e32 v212, v204, v214
	v_fma_f16 v204, v208, v214, -v238
	v_lshrrev_b32_e32 v207, 16, v108
	v_pack_b32_f16 v26, v26, v210
	s_waitcnt vmcnt(17)
	v_mul_f16_sdwa v210, v107, v220 dst_sel:DWORD dst_unused:UNUSED_PAD src0_sel:DWORD src1_sel:WORD_1
	v_mul_f16_sdwa v211, v25, v220 dst_sel:DWORD dst_unused:UNUSED_PAD src0_sel:DWORD src1_sel:WORD_1
	v_pack_b32_f16 v112, v204, v212
	v_mul_f16_sdwa v204, v207, v215 dst_sel:DWORD dst_unused:UNUSED_PAD src0_sel:DWORD src1_sel:WORD_1
	v_mul_f16_sdwa v208, v108, v215 dst_sel:DWORD dst_unused:UNUSED_PAD src0_sel:DWORD src1_sel:WORD_1
	v_add_nc_u32_e32 v212, 0x3800, v153
	v_fma_f16 v25, v25, v220, -v210
	v_fmac_f16_e32 v211, v107, v220
	v_lshrrev_b32_e32 v107, 16, v113
	v_fma_f16 v108, v108, v215, -v204
	v_fmac_f16_e32 v208, v207, v215
	ds_write2_b32 v212, v26, v112 offset0:61 offset1:196
	v_pack_b32_f16 v204, v25, v211
	v_mul_f16_sdwa v25, v107, v216 dst_sel:DWORD dst_unused:UNUSED_PAD src0_sel:DWORD src1_sel:WORD_1
	v_mul_f16_sdwa v210, v113, v216 dst_sel:DWORD dst_unused:UNUSED_PAD src0_sel:DWORD src1_sel:WORD_1
	s_waitcnt lgkmcnt(1)
	v_lshrrev_b32_e32 v26, 16, v115
	v_mul_f16_sdwa v207, v115, v217 dst_sel:DWORD dst_unused:UNUSED_PAD src0_sel:DWORD src1_sel:WORD_1
	v_pack_b32_f16 v112, v108, v208
	v_fma_f16 v113, v113, v216, -v25
	v_add_nc_u32_e32 v208, 0x200, v153
	v_mul_f16_sdwa v108, v26, v217 dst_sel:DWORD dst_unused:UNUSED_PAD src0_sel:DWORD src1_sel:WORD_1
	v_fmac_f16_e32 v207, v26, v217
	ds_read2_b32 v[25:26], v157 offset0:62 offset1:197
	v_fmac_f16_e32 v210, v107, v216
	ds_write2_b32 v208, v112, v204 offset0:7 offset1:142
	v_fma_f16 v115, v115, v217, -v108
	ds_read2_b32 v[107:108], v156 offset0:12 offset1:147
	v_lshrrev_b32_e32 v204, 16, v116
	v_lshrrev_b32_e32 v208, 16, v114
	v_mul_f16_sdwa v214, v114, v219 dst_sel:DWORD dst_unused:UNUSED_PAD src0_sel:DWORD src1_sel:WORD_1
	v_pack_b32_f16 v115, v115, v207
	v_pack_b32_f16 v207, v113, v210
	ds_read2_b32 v[112:113], v155 offset0:40 offset1:175
	v_add_nc_u32_e32 v210, 0xa00, v153
	v_mul_f16_sdwa v211, v204, v218 dst_sel:DWORD dst_unused:UNUSED_PAD src0_sel:DWORD src1_sel:WORD_1
	v_mul_f16_sdwa v213, v208, v219 dst_sel:DWORD dst_unused:UNUSED_PAD src0_sel:DWORD src1_sel:WORD_1
	;; [unrolled: 1-line block ×3, first 2 shown]
	v_fmac_f16_e32 v214, v208, v219
	ds_write2_b32 v210, v207, v115 offset0:35 offset1:170
	v_fma_f16 v115, v116, v218, -v211
	v_fma_f16 v114, v114, v219, -v213
	v_fmac_f16_e32 v212, v204, v218
	s_waitcnt lgkmcnt(4)
	v_lshrrev_b32_e32 v116, 16, v26
	s_waitcnt vmcnt(16)
	v_mul_f16_sdwa v204, v26, v221 dst_sel:DWORD dst_unused:UNUSED_PAD src0_sel:DWORD src1_sel:WORD_1
	v_lshrrev_b32_e32 v211, 16, v206
	v_pack_b32_f16 v208, v114, v214
	s_waitcnt lgkmcnt(2)
	v_lshrrev_b32_e32 v207, 16, v107
	v_mul_f16_sdwa v114, v116, v221 dst_sel:DWORD dst_unused:UNUSED_PAD src0_sel:DWORD src1_sel:WORD_1
	v_fmac_f16_e32 v204, v116, v221
	s_waitcnt vmcnt(15)
	v_mul_f16_sdwa v116, v107, v222 dst_sel:DWORD dst_unused:UNUSED_PAD src0_sel:DWORD src1_sel:WORD_1
	v_pack_b32_f16 v115, v115, v212
	v_mul_f16_sdwa v210, v207, v222 dst_sel:DWORD dst_unused:UNUSED_PAD src0_sel:DWORD src1_sel:WORD_1
	v_fma_f16 v26, v26, v221, -v114
	s_waitcnt lgkmcnt(1)
	v_lshrrev_b32_e32 v114, 16, v113
	v_fmac_f16_e32 v116, v207, v222
	s_waitcnt vmcnt(13)
	v_mul_f16_sdwa v207, v211, v224 dst_sel:DWORD dst_unused:UNUSED_PAD src0_sel:DWORD src1_sel:WORD_1
	v_fma_f16 v107, v107, v222, -v210
	s_waitcnt vmcnt(12)
	v_mul_f16_sdwa v210, v113, v225 dst_sel:DWORD dst_unused:UNUSED_PAD src0_sel:DWORD src1_sel:WORD_1
	v_mul_f16_sdwa v212, v114, v225 dst_sel:DWORD dst_unused:UNUSED_PAD src0_sel:DWORD src1_sel:WORD_1
	;; [unrolled: 1-line block ×3, first 2 shown]
	v_pack_b32_f16 v26, v26, v204
	v_fma_f16 v204, v206, v224, -v207
	v_fmac_f16_e32 v210, v114, v225
	v_fma_f16 v206, v113, v225, -v212
	v_fmac_f16_e32 v213, v211, v224
	v_lshrrev_b32_e32 v207, 16, v25
	ds_read2_b32 v[113:114], v159 offset0:84 offset1:219
	v_pack_b32_f16 v107, v107, v116
	v_pack_b32_f16 v116, v206, v210
	;; [unrolled: 1-line block ×3, first 2 shown]
	s_waitcnt vmcnt(8)
	v_mul_f16_sdwa v206, v207, v229 dst_sel:DWORD dst_unused:UNUSED_PAD src0_sel:DWORD src1_sel:WORD_1
	ds_write2_b32 v109, v115, v208 offset0:49 offset1:184
	v_lshrrev_b32_e32 v115, 16, v108
	ds_write2_b32 v110, v26, v107 offset0:5 offset1:140
	ds_write2_b32 v111, v116, v204 offset0:47 offset1:182
	v_mul_f16_sdwa v116, v25, v229 dst_sel:DWORD dst_unused:UNUSED_PAD src0_sel:DWORD src1_sel:WORD_1
	v_fma_f16 v111, v25, v229, -v206
	ds_read2_b32 v[25:26], v158 offset0:98 offset1:233
	v_mul_f16_sdwa v107, v115, v226 dst_sel:DWORD dst_unused:UNUSED_PAD src0_sel:DWORD src1_sel:WORD_1
	ds_read2_b32 v[109:110], v140 offset0:112 offset1:247
	v_mul_f16_sdwa v204, v108, v226 dst_sel:DWORD dst_unused:UNUSED_PAD src0_sel:DWORD src1_sel:WORD_1
	v_lshrrev_b32_e32 v206, 16, v112
	v_fmac_f16_e32 v116, v207, v229
	v_fma_f16 v207, v108, v226, -v107
	ds_read2_b32 v[107:108], v137 offset0:26 offset1:161
	v_fmac_f16_e32 v204, v115, v226
	s_waitcnt vmcnt(7)
	v_mul_f16_sdwa v115, v206, v230 dst_sel:DWORD dst_unused:UNUSED_PAD src0_sel:DWORD src1_sel:WORD_1
	s_waitcnt lgkmcnt(6)
	v_lshrrev_b32_e32 v208, 16, v113
	v_mul_f16_sdwa v210, v112, v230 dst_sel:DWORD dst_unused:UNUSED_PAD src0_sel:DWORD src1_sel:WORD_1
	v_lshrrev_b32_e32 v211, 16, v114
	s_waitcnt vmcnt(6)
	v_mul_f16_sdwa v212, v113, v231 dst_sel:DWORD dst_unused:UNUSED_PAD src0_sel:DWORD src1_sel:WORD_1
	v_fma_f16 v112, v112, v230, -v115
	v_mul_f16_sdwa v115, v208, v231 dst_sel:DWORD dst_unused:UNUSED_PAD src0_sel:DWORD src1_sel:WORD_1
	v_fmac_f16_e32 v210, v206, v230
	s_waitcnt vmcnt(5)
	v_mul_f16_sdwa v206, v211, v232 dst_sel:DWORD dst_unused:UNUSED_PAD src0_sel:DWORD src1_sel:WORD_1
	v_fmac_f16_e32 v212, v208, v231
	v_mul_f16_sdwa v208, v114, v232 dst_sel:DWORD dst_unused:UNUSED_PAD src0_sel:DWORD src1_sel:WORD_1
	v_fma_f16 v113, v113, v231, -v115
	s_waitcnt lgkmcnt(2)
	v_lshrrev_b32_e32 v115, 16, v26
	v_fma_f16 v114, v114, v232, -v206
	s_waitcnt vmcnt(4)
	v_mul_f16_sdwa v206, v26, v233 dst_sel:DWORD dst_unused:UNUSED_PAD src0_sel:DWORD src1_sel:WORD_1
	v_fmac_f16_e32 v208, v211, v232
	s_waitcnt lgkmcnt(1)
	v_lshrrev_b32_e32 v211, 16, v109
	v_mul_f16_sdwa v213, v115, v233 dst_sel:DWORD dst_unused:UNUSED_PAD src0_sel:DWORD src1_sel:WORD_1
	s_waitcnt vmcnt(3)
	v_mul_f16_sdwa v214, v109, v234 dst_sel:DWORD dst_unused:UNUSED_PAD src0_sel:DWORD src1_sel:WORD_1
	v_fmac_f16_e32 v206, v115, v233
	s_waitcnt lgkmcnt(0)
	v_lshrrev_b32_e32 v115, 16, v107
	v_mul_f16_sdwa v215, v211, v234 dst_sel:DWORD dst_unused:UNUSED_PAD src0_sel:DWORD src1_sel:WORD_1
	v_fma_f16 v26, v26, v233, -v213
	v_fmac_f16_e32 v214, v211, v234
	v_mul_f16_sdwa v211, v107, v227 dst_sel:DWORD dst_unused:UNUSED_PAD src0_sel:DWORD src1_sel:WORD_1
	v_mul_f16_sdwa v213, v115, v227 dst_sel:DWORD dst_unused:UNUSED_PAD src0_sel:DWORD src1_sel:WORD_1
	v_fma_f16 v109, v109, v234, -v215
	v_lshrrev_b32_e32 v215, 16, v205
	v_pack_b32_f16 v26, v26, v206
	v_fmac_f16_e32 v211, v115, v227
	v_fma_f16 v107, v107, v227, -v213
	v_pack_b32_f16 v109, v109, v214
	v_pack_b32_f16 v204, v207, v204
	s_waitcnt vmcnt(1)
	v_mul_f16_sdwa v115, v215, v236 dst_sel:DWORD dst_unused:UNUSED_PAD src0_sel:DWORD src1_sel:WORD_1
	v_mul_f16_sdwa v206, v205, v236 dst_sel:DWORD dst_unused:UNUSED_PAD src0_sel:DWORD src1_sel:WORD_1
	v_pack_b32_f16 v107, v107, v211
	ds_write2_b32 v193, v26, v109 offset0:105 offset1:240
	v_lshrrev_b32_e32 v26, 16, v25
	v_fma_f16 v109, v205, v236, -v115
	v_fmac_f16_e32 v206, v215, v236
	ds_write2_b32 v194, v204, v107 offset0:19 offset1:154
	v_lshrrev_b32_e32 v107, 16, v110
	v_mul_f16_sdwa v115, v26, v235 dst_sel:DWORD dst_unused:UNUSED_PAD src0_sel:DWORD src1_sel:WORD_1
	v_mul_f16_sdwa v204, v25, v235 dst_sel:DWORD dst_unused:UNUSED_PAD src0_sel:DWORD src1_sel:WORD_1
	v_pack_b32_f16 v109, v109, v206
	v_mul_f16_sdwa v206, v108, v228 dst_sel:DWORD dst_unused:UNUSED_PAD src0_sel:DWORD src1_sel:WORD_1
	s_waitcnt vmcnt(0)
	v_mul_f16_sdwa v205, v107, v237 dst_sel:DWORD dst_unused:UNUSED_PAD src0_sel:DWORD src1_sel:WORD_1
	v_fma_f16 v25, v25, v235, -v115
	v_mul_f16_sdwa v115, v110, v237 dst_sel:DWORD dst_unused:UNUSED_PAD src0_sel:DWORD src1_sel:WORD_1
	v_fmac_f16_e32 v204, v26, v235
	v_lshrrev_b32_e32 v26, 16, v108
	v_fma_f16 v110, v110, v237, -v205
	v_lshrrev_b32_e32 v205, 16, v209
	v_fmac_f16_e32 v115, v107, v237
	v_pack_b32_f16 v107, v114, v208
	v_mul_f16_sdwa v114, v26, v228 dst_sel:DWORD dst_unused:UNUSED_PAD src0_sel:DWORD src1_sel:WORD_1
	v_mul_f16_sdwa v208, v209, v223 dst_sel:DWORD dst_unused:UNUSED_PAD src0_sel:DWORD src1_sel:WORD_1
	;; [unrolled: 1-line block ×3, first 2 shown]
	v_fmac_f16_e32 v206, v26, v228
	v_pack_b32_f16 v113, v113, v212
	v_fma_f16 v108, v108, v228, -v114
	v_fmac_f16_e32 v208, v205, v223
	v_fma_f16 v26, v209, v223, -v207
	v_pack_b32_f16 v25, v25, v204
	v_pack_b32_f16 v111, v111, v116
	;; [unrolled: 1-line block ×6, first 2 shown]
	ds_write2_b32 v165, v109, v113 offset0:77 offset1:212
	ds_write2_b32 v163, v107, v25 offset0:91 offset1:226
	ds_write2_b32 v195, v110, v111 offset0:119 offset1:254
	ds_write2_b32 v186, v108, v112 offset0:33 offset1:168
	ds_write_b32 v153, v26 offset:15660
	s_waitcnt lgkmcnt(0)
	s_barrier
	buffer_gl0_inv
	ds_read2_b32 v[25:26], v155 offset0:40 offset1:175
	ds_read2_b32 v[204:205], v161 offset0:42 offset1:177
	;; [unrolled: 1-line block ×4, first 2 shown]
	ds_read2_b32 v[210:211], v153 offset1:135
	s_waitcnt lgkmcnt(3)
	v_add_f16_e32 v107, v204, v25
	s_waitcnt lgkmcnt(2)
	v_sub_f16_e32 v108, v206, v25
	s_waitcnt lgkmcnt(1)
	v_sub_f16_e32 v109, v208, v204
	v_sub_f16_sdwa v227, v208, v206 dst_sel:DWORD dst_unused:UNUSED_PAD src0_sel:WORD_1 src1_sel:WORD_1
	v_add_f16_sdwa v213, v208, v206 dst_sel:DWORD dst_unused:UNUSED_PAD src0_sel:WORD_1 src1_sel:WORD_1
	s_waitcnt lgkmcnt(0)
	v_fma_f16 v226, -0.5, v107, v210
	v_lshrrev_b32_e32 v229, 16, v210
	v_add_f16_e32 v212, v109, v108
	ds_read2_b32 v[109:110], v156 offset0:12 offset1:147
	ds_read2_b32 v[111:112], v150 offset0:54 offset1:189
	;; [unrolled: 1-line block ×5, first 2 shown]
	v_add_f16_sdwa v214, v204, v25 dst_sel:DWORD dst_unused:UNUSED_PAD src0_sel:WORD_1 src1_sel:WORD_1
	v_fmamk_f16 v228, v227, 0x3b9c, v226
	v_sub_f16_sdwa v222, v204, v25 dst_sel:DWORD dst_unused:UNUSED_PAD src0_sel:WORD_1 src1_sel:WORD_1
	v_fmac_f16_e32 v226, 0xbb9c, v227
	v_fma_f16 v230, -0.5, v213, v229
	v_fmac_f16_e32 v229, -0.5, v214
	v_sub_f16_sdwa v213, v208, v204 dst_sel:DWORD dst_unused:UNUSED_PAD src0_sel:WORD_1 src1_sel:WORD_1
	v_fmac_f16_e32 v228, 0xb8b4, v222
	v_fmac_f16_e32 v226, 0x38b4, v222
	v_sub_f16_sdwa v214, v206, v25 dst_sel:DWORD dst_unused:UNUSED_PAD src0_sel:WORD_1 src1_sel:WORD_1
	v_sub_f16_e32 v231, v208, v206
	v_sub_f16_e32 v223, v204, v25
	v_fmac_f16_e32 v228, 0x34f2, v212
	v_fmac_f16_e32 v226, 0x34f2, v212
	v_add_f16_e32 v212, v213, v214
	v_fmamk_f16 v232, v231, 0xbb9c, v229
	v_fmac_f16_e32 v229, 0x3b9c, v231
	s_waitcnt lgkmcnt(2)
	v_add_f16_sdwa v213, v114, v110 dst_sel:DWORD dst_unused:UNUSED_PAD src0_sel:WORD_1 src1_sel:WORD_1
	s_waitcnt lgkmcnt(1)
	v_lshrrev_b32_e32 v214, 16, v108
	s_waitcnt lgkmcnt(0)
	v_add_f16_sdwa v215, v116, v112 dst_sel:DWORD dst_unused:UNUSED_PAD src0_sel:WORD_1 src1_sel:WORD_1
	v_add_f16_e32 v217, v116, v112
	v_sub_f16_e32 v224, v114, v110
	v_sub_f16_sdwa v234, v114, v110 dst_sel:DWORD dst_unused:UNUSED_PAD src0_sel:WORD_1 src1_sel:WORD_1
	v_fma_f16 v233, -0.5, v213, v214
	v_fmac_f16_e32 v214, -0.5, v215
	v_fma_f16 v213, -0.5, v217, v108
	v_fmac_f16_e32 v232, 0x38b4, v223
	v_fmac_f16_e32 v229, 0xb8b4, v223
	v_sub_f16_e32 v216, v110, v112
	v_sub_f16_e32 v218, v114, v116
	v_sub_f16_sdwa v215, v114, v116 dst_sel:DWORD dst_unused:UNUSED_PAD src0_sel:WORD_1 src1_sel:WORD_1
	v_sub_f16_sdwa v217, v110, v112 dst_sel:DWORD dst_unused:UNUSED_PAD src0_sel:WORD_1 src1_sel:WORD_1
	v_fmamk_f16 v219, v224, 0xbb9c, v214
	v_fmac_f16_e32 v214, 0x3b9c, v224
	v_sub_f16_e32 v220, v116, v112
	v_fmamk_f16 v221, v234, 0x3b9c, v213
	v_fmac_f16_e32 v213, 0xbb9c, v234
	v_sub_f16_sdwa v225, v116, v112 dst_sel:DWORD dst_unused:UNUSED_PAD src0_sel:WORD_1 src1_sel:WORD_1
	v_add_f16_e32 v215, v215, v217
	v_fmac_f16_e32 v214, 0xb8b4, v220
	v_add_f16_e32 v216, v218, v216
	v_fmac_f16_e32 v219, 0x38b4, v220
	v_fmac_f16_e32 v221, 0xb8b4, v225
	;; [unrolled: 1-line block ×5, first 2 shown]
	v_add_f16_e32 v212, v114, v110
	v_fmac_f16_e32 v214, 0x34f2, v215
	v_fmac_f16_e32 v219, 0x34f2, v215
	;; [unrolled: 1-line block ×4, first 2 shown]
	v_sub_f16_sdwa v215, v116, v114 dst_sel:DWORD dst_unused:UNUSED_PAD src0_sel:WORD_1 src1_sel:WORD_1
	v_sub_f16_sdwa v216, v112, v110 dst_sel:DWORD dst_unused:UNUSED_PAD src0_sel:WORD_1 src1_sel:WORD_1
	v_fma_f16 v239, -0.5, v212, v108
	v_sub_f16_e32 v217, v112, v110
	v_sub_f16_e32 v218, v116, v114
	v_fmamk_f16 v212, v220, 0x3b9c, v233
	v_add_f16_e32 v240, v215, v216
	v_fmamk_f16 v215, v225, 0xbb9c, v239
	v_mul_f16_e32 v237, 0xbb9c, v219
	v_add_f16_e32 v241, v218, v217
	v_add_f16_e32 v218, v208, v206
	v_mul_f16_e32 v238, 0x34f2, v219
	v_fmac_f16_e32 v212, 0x38b4, v224
	v_fmac_f16_e32 v215, 0xb8b4, v234
	;; [unrolled: 1-line block ×3, first 2 shown]
	v_fma_f16 v244, -0.5, v218, v210
	v_fmac_f16_e32 v238, 0x3b9c, v221
	v_sub_f16_e32 v216, v25, v206
	v_sub_f16_e32 v219, v204, v208
	v_fmac_f16_e32 v212, 0x34f2, v240
	v_sub_f16_sdwa v217, v204, v208 dst_sel:DWORD dst_unused:UNUSED_PAD src0_sel:WORD_1 src1_sel:WORD_1
	v_sub_f16_sdwa v221, v25, v206 dst_sel:DWORD dst_unused:UNUSED_PAD src0_sel:WORD_1 src1_sel:WORD_1
	v_fmac_f16_e32 v215, 0x34f2, v241
	v_pk_add_f16 v204, v210, v204
	v_fmamk_f16 v210, v222, 0xbb9c, v244
	v_fmamk_f16 v247, v223, 0x3b9c, v230
	v_mul_f16_e32 v242, 0xb8b4, v212
	v_add_f16_e32 v245, v219, v216
	v_add_f16_e32 v246, v217, v221
	v_pk_add_f16 v108, v108, v116
	v_mul_f16_e32 v116, 0x38b4, v215
	v_pk_add_f16 v204, v204, v208
	v_fmac_f16_e32 v210, 0xb8b4, v227
	v_fmac_f16_e32 v247, 0x38b4, v231
	;; [unrolled: 1-line block ×4, first 2 shown]
	v_pk_add_f16 v108, v108, v114
	v_fmac_f16_e32 v116, 0x3a79, v212
	v_pk_add_f16 v114, v204, v206
	v_fmac_f16_e32 v210, 0x34f2, v245
	v_fmac_f16_e32 v247, 0x34f2, v246
	;; [unrolled: 1-line block ×4, first 2 shown]
	v_pk_add_f16 v108, v108, v110
	v_pk_add_f16 v25, v114, v25
	v_add_f16_e32 v114, v210, v242
	v_add_f16_e32 v204, v247, v116
	v_fmac_f16_e32 v244, 0x3b9c, v222
	v_fmac_f16_e32 v230, 0xbb9c, v223
	;; [unrolled: 1-line block ×4, first 2 shown]
	v_mul_f16_e32 v235, 0xbb9c, v214
	v_mul_f16_e32 v236, 0xb4f2, v214
	v_add_f16_e32 v243, v228, v237
	v_add_f16_e32 v110, v232, v238
	v_pk_add_f16 v108, v108, v112
	v_pack_b32_f16 v215, v114, v204
	v_fmac_f16_e32 v244, 0x38b4, v227
	v_fmac_f16_e32 v230, 0xb8b4, v231
	v_fmac_f16_e32 v239, 0x34f2, v241
	v_mul_f16_e32 v112, 0xb8b4, v233
	v_mul_f16_e32 v114, 0xba79, v233
	v_fmac_f16_e32 v235, 0xb4f2, v213
	v_fmac_f16_e32 v236, 0x3b9c, v213
	v_pack_b32_f16 v212, v243, v110
	v_sub_f16_e32 v110, v228, v237
	v_sub_f16_e32 v204, v232, v238
	v_fmac_f16_e32 v244, 0x34f2, v245
	v_fmac_f16_e32 v230, 0x34f2, v246
	v_fmac_f16_e32 v112, 0xba79, v239
	v_fmac_f16_e32 v114, 0x38b4, v239
	v_add_f16_e32 v213, v226, v235
	v_add_f16_e32 v214, v229, v236
	v_sub_f16_e32 v206, v210, v242
	v_sub_f16_e32 v116, v247, v116
	v_pack_b32_f16 v227, v110, v204
	v_add_f16_e32 v110, v244, v112
	v_add_f16_e32 v204, v230, v114
	v_sub_f16_e32 v208, v226, v235
	v_sub_f16_e32 v112, v244, v112
	v_sub_f16_e32 v114, v230, v114
	v_sub_f16_e32 v210, v229, v236
	v_pack_b32_f16 v213, v213, v214
	v_pk_add_f16 v214, v25, v108
	v_pk_add_f16 v229, v25, v108 neg_lo:[0,1] neg_hi:[0,1]
	v_pk_add_f16 v25, v211, v205
	v_pack_b32_f16 v226, v206, v116
	v_pack_b32_f16 v228, v110, v204
	;; [unrolled: 1-line block ×4, first 2 shown]
	ds_read2_b32 v[216:217], v146 offset0:28 offset1:163
	ds_read2_b32 v[218:219], v143 offset0:70 offset1:205
	;; [unrolled: 1-line block ×5, first 2 shown]
	s_waitcnt lgkmcnt(0)
	s_barrier
	buffer_gl0_inv
	ds_write2_b64 v164, v[214:215], v[212:213] offset1:1
	ds_write2_b64 v164, v[228:229], v[226:227] offset0:2 offset1:3
	ds_write_b64 v164, v[230:231] offset:32
	v_pk_add_f16 v25, v25, v209
	v_add_f16_e32 v108, v209, v207
	v_sub_f16_sdwa v110, v209, v207 dst_sel:DWORD dst_unused:UNUSED_PAD src0_sel:WORD_1 src1_sel:WORD_1
	v_sub_f16_e32 v112, v205, v209
	v_sub_f16_e32 v114, v209, v205
	v_add_f16_sdwa v116, v209, v207 dst_sel:DWORD dst_unused:UNUSED_PAD src0_sel:WORD_1 src1_sel:WORD_1
	v_sub_f16_e32 v164, v209, v207
	v_sub_f16_sdwa v204, v205, v209 dst_sel:DWORD dst_unused:UNUSED_PAD src0_sel:WORD_1 src1_sel:WORD_1
	v_sub_f16_sdwa v206, v209, v205 dst_sel:DWORD dst_unused:UNUSED_PAD src0_sel:WORD_1 src1_sel:WORD_1
	v_add_f16_e32 v209, v205, v26
	v_sub_f16_sdwa v208, v205, v26 dst_sel:DWORD dst_unused:UNUSED_PAD src0_sel:WORD_1 src1_sel:WORD_1
	v_pk_add_f16 v25, v25, v207
	v_sub_f16_e32 v213, v207, v26
	v_sub_f16_e32 v210, v205, v26
	v_fma_f16 v209, -0.5, v209, v211
	v_add_f16_sdwa v205, v205, v26 dst_sel:DWORD dst_unused:UNUSED_PAD src0_sel:WORD_1 src1_sel:WORD_1
	v_sub_f16_e32 v212, v26, v207
	v_sub_f16_sdwa v214, v26, v207 dst_sel:DWORD dst_unused:UNUSED_PAD src0_sel:WORD_1 src1_sel:WORD_1
	v_lshrrev_b32_e32 v215, 16, v211
	v_fmamk_f16 v227, v110, 0x3b9c, v209
	v_fmac_f16_e32 v209, 0xbb9c, v110
	v_sub_f16_sdwa v207, v207, v26 dst_sel:DWORD dst_unused:UNUSED_PAD src0_sel:WORD_1 src1_sel:WORD_1
	v_pk_add_f16 v226, v25, v26
	v_add_f16_e32 v25, v114, v213
	v_fmac_f16_e32 v227, 0xb8b4, v208
	v_fmac_f16_e32 v209, 0x38b4, v208
	v_fma_f16 v116, -0.5, v116, v215
	v_fmac_f16_e32 v215, -0.5, v205
	v_add_f16_sdwa v26, v220, v222 dst_sel:DWORD dst_unused:UNUSED_PAD src0_sel:WORD_1 src1_sel:WORD_1
	v_fmac_f16_e32 v227, 0x34f2, v25
	v_fmac_f16_e32 v209, 0x34f2, v25
	v_add_f16_e32 v25, v206, v207
	v_lshrrev_b32_e32 v205, 16, v216
	v_add_f16_sdwa v206, v218, v224 dst_sel:DWORD dst_unused:UNUSED_PAD src0_sel:WORD_1 src1_sel:WORD_1
	v_fma_f16 v108, -0.5, v108, v211
	v_add_f16_e32 v211, v218, v224
	v_fmamk_f16 v114, v164, 0xbb9c, v215
	v_fma_f16 v228, -0.5, v26, v205
	v_fmac_f16_e32 v205, -0.5, v206
	v_sub_f16_e32 v206, v220, v222
	v_fmac_f16_e32 v215, 0x3b9c, v164
	v_fma_f16 v26, -0.5, v211, v216
	v_sub_f16_sdwa v211, v220, v222 dst_sel:DWORD dst_unused:UNUSED_PAD src0_sel:WORD_1 src1_sel:WORD_1
	v_sub_f16_sdwa v229, v220, v218 dst_sel:DWORD dst_unused:UNUSED_PAD src0_sel:WORD_1 src1_sel:WORD_1
	;; [unrolled: 1-line block ×3, first 2 shown]
	v_fmamk_f16 v231, v206, 0xbb9c, v205
	v_fmac_f16_e32 v205, 0x3b9c, v206
	v_sub_f16_e32 v232, v218, v224
	v_fmac_f16_e32 v114, 0x38b4, v210
	v_fmac_f16_e32 v215, 0xb8b4, v210
	v_sub_f16_e32 v207, v222, v224
	v_sub_f16_e32 v213, v220, v218
	v_fmamk_f16 v233, v211, 0x3b9c, v26
	v_fmac_f16_e32 v26, 0xbb9c, v211
	v_sub_f16_sdwa v234, v218, v224 dst_sel:DWORD dst_unused:UNUSED_PAD src0_sel:WORD_1 src1_sel:WORD_1
	v_add_f16_e32 v229, v229, v230
	v_fmac_f16_e32 v205, 0xb8b4, v232
	v_fmac_f16_e32 v231, 0x38b4, v232
	;; [unrolled: 1-line block ×3, first 2 shown]
	v_add_f16_e32 v207, v213, v207
	v_fmac_f16_e32 v26, 0x38b4, v234
	v_fmac_f16_e32 v205, 0x34f2, v229
	;; [unrolled: 1-line block ×5, first 2 shown]
	v_add_f16_e32 v25, v220, v222
	v_fmac_f16_e32 v26, 0x34f2, v207
	v_mul_f16_e32 v213, 0xbb9c, v205
	v_fmac_f16_e32 v233, 0x34f2, v207
	v_mul_f16_e32 v207, 0xb4f2, v205
	v_mul_f16_e32 v229, 0xbb9c, v231
	;; [unrolled: 1-line block ×3, first 2 shown]
	v_fma_f16 v231, -0.5, v25, v216
	v_fmac_f16_e32 v213, 0xb4f2, v26
	v_fmac_f16_e32 v207, 0x3b9c, v26
	;; [unrolled: 1-line block ×4, first 2 shown]
	v_sub_f16_e32 v26, v224, v222
	v_sub_f16_e32 v25, v218, v220
	v_sub_f16_sdwa v205, v218, v220 dst_sel:DWORD dst_unused:UNUSED_PAD src0_sel:WORD_1 src1_sel:WORD_1
	v_sub_f16_sdwa v233, v224, v222 dst_sel:DWORD dst_unused:UNUSED_PAD src0_sel:WORD_1 src1_sel:WORD_1
	v_fmamk_f16 v235, v232, 0x3b9c, v228
	v_fmamk_f16 v236, v234, 0xbb9c, v231
	v_add_f16_e32 v238, v25, v26
	v_add_f16_e32 v112, v112, v212
	;; [unrolled: 1-line block ×3, first 2 shown]
	v_fmac_f16_e32 v235, 0x38b4, v206
	v_fmac_f16_e32 v236, 0xb8b4, v211
	v_add_f16_e32 v212, v204, v214
	v_fmamk_f16 v214, v208, 0xbb9c, v108
	v_fmamk_f16 v239, v210, 0x3b9c, v116
	v_fmac_f16_e32 v235, 0x34f2, v233
	v_fmac_f16_e32 v236, 0x34f2, v238
	v_pk_add_f16 v26, v216, v218
	v_fmac_f16_e32 v228, 0xbb9c, v232
	v_fmac_f16_e32 v214, 0xb8b4, v110
	v_mul_f16_e32 v216, 0xb8b4, v235
	v_mul_f16_e32 v218, 0x38b4, v236
	v_fmac_f16_e32 v239, 0x38b4, v164
	v_pk_add_f16 v26, v26, v220
	v_fmac_f16_e32 v231, 0x3b9c, v234
	v_fmac_f16_e32 v228, 0xb8b4, v206
	;; [unrolled: 1-line block ×6, first 2 shown]
	v_pk_add_f16 v26, v26, v222
	v_fmac_f16_e32 v108, 0x3b9c, v208
	v_fmac_f16_e32 v116, 0xbb9c, v210
	;; [unrolled: 1-line block ×4, first 2 shown]
	v_add_f16_e32 v237, v209, v213
	v_add_f16_e32 v25, v215, v207
	;; [unrolled: 1-line block ×6, first 2 shown]
	v_pk_add_f16 v224, v26, v224
	v_fmac_f16_e32 v108, 0x38b4, v110
	v_fmac_f16_e32 v116, 0xb8b4, v164
	;; [unrolled: 1-line block ×3, first 2 shown]
	v_mul_f16_e32 v110, 0xb8b4, v228
	v_mul_f16_e32 v164, 0xba79, v228
	v_pack_b32_f16 v26, v237, v25
	v_pack_b32_f16 v25, v204, v205
	;; [unrolled: 1-line block ×3, first 2 shown]
	v_pk_add_f16 v204, v226, v224
	v_sub_f16_e32 v206, v227, v229
	v_sub_f16_e32 v114, v114, v230
	v_fmac_f16_e32 v108, 0x34f2, v112
	v_fmac_f16_e32 v116, 0x34f2, v212
	;; [unrolled: 1-line block ×4, first 2 shown]
	ds_write2_b64 v196, v[204:205], v[25:26] offset1:1
	v_pack_b32_f16 v26, v206, v114
	v_add_f16_e32 v211, v115, v111
	v_add_f16_e32 v112, v108, v110
	;; [unrolled: 1-line block ×3, first 2 shown]
	v_sub_f16_e32 v108, v108, v110
	v_sub_f16_e32 v110, v116, v164
	v_pk_add_f16 v164, v107, v115
	v_sub_f16_e32 v214, v214, v216
	v_sub_f16_e32 v208, v239, v218
	;; [unrolled: 1-line block ×4, first 2 shown]
	v_pack_b32_f16 v204, v112, v114
	v_pack_b32_f16 v207, v108, v110
	v_pk_add_f16 v108, v164, v113
	v_sub_f16_sdwa v112, v113, v109 dst_sel:DWORD dst_unused:UNUSED_PAD src0_sel:WORD_1 src1_sel:WORD_1
	v_fma_f16 v211, -0.5, v211, v107
	v_pack_b32_f16 v25, v214, v208
	v_pack_b32_f16 v206, v206, v116
	v_add_f16_e32 v110, v113, v109
	v_sub_f16_e32 v116, v113, v115
	v_sub_f16_sdwa v210, v115, v111 dst_sel:DWORD dst_unused:UNUSED_PAD src0_sel:WORD_1 src1_sel:WORD_1
	v_pk_add_f16 v108, v108, v109
	v_pk_add_f16 v214, v217, v219
	v_sub_f16_e32 v215, v109, v111
	v_fmamk_f16 v233, v112, 0x3b9c, v211
	v_fmac_f16_e32 v211, 0xbb9c, v112
	v_pk_add_f16 v205, v226, v224 neg_lo:[0,1] neg_hi:[0,1]
	v_sub_f16_e32 v114, v115, v113
	v_add_f16_sdwa v164, v113, v109 dst_sel:DWORD dst_unused:UNUSED_PAD src0_sel:WORD_1 src1_sel:WORD_1
	v_sub_f16_e32 v208, v113, v109
	v_sub_f16_sdwa v209, v115, v113 dst_sel:DWORD dst_unused:UNUSED_PAD src0_sel:WORD_1 src1_sel:WORD_1
	v_sub_f16_sdwa v113, v113, v115 dst_sel:DWORD dst_unused:UNUSED_PAD src0_sel:WORD_1 src1_sel:WORD_1
	v_sub_f16_e32 v212, v115, v111
	v_add_f16_sdwa v115, v115, v111 dst_sel:DWORD dst_unused:UNUSED_PAD src0_sel:WORD_1 src1_sel:WORD_1
	v_sub_f16_e32 v213, v111, v109
	v_sub_f16_sdwa v216, v111, v109 dst_sel:DWORD dst_unused:UNUSED_PAD src0_sel:WORD_1 src1_sel:WORD_1
	v_sub_f16_sdwa v109, v109, v111 dst_sel:DWORD dst_unused:UNUSED_PAD src0_sel:WORD_1 src1_sel:WORD_1
	v_pk_add_f16 v218, v108, v111
	v_pk_add_f16 v108, v214, v221
	v_add_f16_e32 v111, v221, v223
	v_sub_f16_sdwa v214, v221, v223 dst_sel:DWORD dst_unused:UNUSED_PAD src0_sel:WORD_1 src1_sel:WORD_1
	v_sub_f16_e32 v220, v219, v221
	v_sub_f16_e32 v222, v221, v219
	v_add_f16_sdwa v224, v221, v223 dst_sel:DWORD dst_unused:UNUSED_PAD src0_sel:WORD_1 src1_sel:WORD_1
	v_sub_f16_e32 v226, v221, v223
	v_sub_f16_sdwa v227, v219, v221 dst_sel:DWORD dst_unused:UNUSED_PAD src0_sel:WORD_1 src1_sel:WORD_1
	v_sub_f16_sdwa v221, v221, v219 dst_sel:DWORD dst_unused:UNUSED_PAD src0_sel:WORD_1 src1_sel:WORD_1
	;; [unrolled: 1-line block ×3, first 2 shown]
	v_add_f16_e32 v229, v219, v225
	v_sub_f16_e32 v230, v219, v225
	v_add_f16_sdwa v219, v219, v225 dst_sel:DWORD dst_unused:UNUSED_PAD src0_sel:WORD_1 src1_sel:WORD_1
	v_add_f16_e32 v116, v116, v215
	v_fmac_f16_e32 v233, 0xb8b4, v210
	v_fmac_f16_e32 v211, 0x38b4, v210
	v_lshrrev_b32_e32 v215, 16, v107
	v_fma_f16 v235, -0.5, v110, v107
	v_lshrrev_b32_e32 v107, 16, v217
	v_fmac_f16_e32 v233, 0x34f2, v116
	v_fmac_f16_e32 v211, 0x34f2, v116
	v_fma_f16 v116, -0.5, v164, v215
	v_fmac_f16_e32 v215, -0.5, v115
	v_fma_f16 v115, -0.5, v224, v107
	v_fmac_f16_e32 v107, -0.5, v219
	v_pk_add_f16 v108, v108, v223
	v_sub_f16_e32 v231, v225, v223
	v_sub_f16_e32 v232, v223, v225
	v_sub_f16_sdwa v234, v225, v223 dst_sel:DWORD dst_unused:UNUSED_PAD src0_sel:WORD_1 src1_sel:WORD_1
	v_sub_f16_sdwa v223, v223, v225 dst_sel:DWORD dst_unused:UNUSED_PAD src0_sel:WORD_1 src1_sel:WORD_1
	v_fmamk_f16 v164, v226, 0xbb9c, v107
	v_fmac_f16_e32 v107, 0x3b9c, v226
	v_add_f16_e32 v109, v113, v109
	v_fma_f16 v110, -0.5, v229, v217
	v_fmamk_f16 v113, v208, 0xbb9c, v215
	v_fmac_f16_e32 v215, 0x3b9c, v208
	v_add_f16_e32 v219, v221, v223
	v_fmac_f16_e32 v107, 0xb8b4, v230
	v_fma_f16 v111, -0.5, v111, v217
	v_fmamk_f16 v217, v214, 0x3b9c, v110
	v_fmac_f16_e32 v110, 0xbb9c, v214
	v_fmac_f16_e32 v113, 0x38b4, v212
	v_fmac_f16_e32 v215, 0xb8b4, v212
	v_fmac_f16_e32 v107, 0x34f2, v219
	v_fmac_f16_e32 v164, 0x38b4, v230
	v_add_f16_e32 v221, v222, v232
	v_fmac_f16_e32 v110, 0x38b4, v228
	v_fmac_f16_e32 v113, 0x34f2, v109
	;; [unrolled: 1-line block ×3, first 2 shown]
	v_mul_f16_e32 v222, 0xbb9c, v107
	v_mul_f16_e32 v223, 0xb4f2, v107
	v_fmac_f16_e32 v164, 0x34f2, v219
	v_fmac_f16_e32 v215, 0x34f2, v109
	v_fmamk_f16 v107, v230, 0x3b9c, v115
	v_fmamk_f16 v109, v228, 0xbb9c, v111
	v_fmac_f16_e32 v115, 0xbb9c, v230
	v_fmac_f16_e32 v110, 0x34f2, v221
	;; [unrolled: 1-line block ×3, first 2 shown]
	v_mul_f16_e32 v219, 0xbb9c, v164
	v_mul_f16_e32 v164, 0x34f2, v164
	v_add_f16_e32 v220, v220, v231
	v_add_f16_e32 v221, v227, v234
	v_fmac_f16_e32 v107, 0x38b4, v226
	v_fmac_f16_e32 v109, 0xb8b4, v214
	;; [unrolled: 1-line block ×6, first 2 shown]
	v_add_f16_e32 v114, v114, v213
	v_fmac_f16_e32 v107, 0x34f2, v221
	v_fmac_f16_e32 v109, 0x34f2, v220
	v_fmamk_f16 v213, v210, 0xbb9c, v235
	v_fmamk_f16 v217, v212, 0x3b9c, v116
	v_fmac_f16_e32 v235, 0x3b9c, v210
	v_fmac_f16_e32 v116, 0xbb9c, v212
	;; [unrolled: 1-line block ×4, first 2 shown]
	v_add_f16_e32 v209, v209, v216
	v_mul_f16_e32 v216, 0xb8b4, v107
	v_mul_f16_e32 v224, 0x38b4, v109
	v_fmac_f16_e32 v213, 0xb8b4, v112
	v_fmac_f16_e32 v217, 0x38b4, v208
	;; [unrolled: 1-line block ×5, first 2 shown]
	v_mul_f16_e32 v208, 0xb8b4, v115
	v_mul_f16_e32 v115, 0xba79, v115
	v_fmac_f16_e32 v222, 0xb4f2, v110
	v_fmac_f16_e32 v223, 0x3b9c, v110
	;; [unrolled: 1-line block ×10, first 2 shown]
	v_sub_f16_e32 v210, v233, v219
	v_sub_f16_e32 v112, v113, v164
	v_add_f16_e32 v110, v211, v222
	v_add_f16_e32 v107, v215, v223
	;; [unrolled: 1-line block ×6, first 2 shown]
	v_pk_add_f16 v225, v108, v225
	v_sub_f16_e32 v111, v213, v216
	v_sub_f16_e32 v113, v217, v224
	v_add_f16_e32 v164, v235, v208
	v_add_f16_e32 v209, v116, v115
	v_pack_b32_f16 v112, v210, v112
	v_sub_f16_e32 v210, v211, v222
	v_sub_f16_e32 v208, v235, v208
	;; [unrolled: 1-line block ×4, first 2 shown]
	v_pack_b32_f16 v108, v110, v107
	v_pack_b32_f16 v107, v109, v227
	;; [unrolled: 1-line block ×3, first 2 shown]
	v_pk_add_f16 v109, v218, v225
	v_pack_b32_f16 v111, v111, v113
	v_pk_add_f16 v114, v218, v225 neg_lo:[0,1] neg_hi:[0,1]
	v_pack_b32_f16 v113, v164, v209
	v_pack_b32_f16 v116, v208, v115
	;; [unrolled: 1-line block ×3, first 2 shown]
	ds_write2_b64 v196, v[204:205], v[25:26] offset0:2 offset1:3
	ds_write_b64 v196, v[206:207] offset:32
	ds_write2_b64 v202, v[109:110], v[107:108] offset1:1
	ds_write2_b64 v202, v[113:114], v[111:112] offset0:2 offset1:3
	ds_write_b64 v202, v[115:116] offset:32
	s_waitcnt lgkmcnt(0)
	s_barrier
	buffer_gl0_inv
	ds_read2_b32 v[25:26], v161 offset0:42 offset1:177
	ds_read2_b32 v[107:108], v159 offset0:84 offset1:219
	;; [unrolled: 1-line block ×10, first 2 shown]
	s_waitcnt lgkmcnt(9)
	v_lshrrev_b32_e32 v113, 16, v25
	v_mul_f16_sdwa v114, v8, v25 dst_sel:DWORD dst_unused:UNUSED_PAD src0_sel:WORD_1 src1_sel:DWORD
	s_waitcnt lgkmcnt(8)
	v_lshrrev_b32_e32 v115, 16, v107
	v_mul_f16_sdwa v116, v9, v107 dst_sel:DWORD dst_unused:UNUSED_PAD src0_sel:WORD_1 src1_sel:DWORD
	s_waitcnt lgkmcnt(6)
	v_mul_f16_sdwa v164, v11, v111 dst_sel:DWORD dst_unused:UNUSED_PAD src0_sel:WORD_1 src1_sel:DWORD
	v_mul_f16_sdwa v215, v8, v113 dst_sel:DWORD dst_unused:UNUSED_PAD src0_sel:WORD_1 src1_sel:DWORD
	v_fma_f16 v212, v8, v113, -v114
	v_lshrrev_b32_e32 v113, 16, v109
	v_fma_f16 v213, v9, v115, -v116
	v_lshrrev_b32_e32 v116, 16, v111
	v_mul_f16_sdwa v114, v10, v109 dst_sel:DWORD dst_unused:UNUSED_PAD src0_sel:WORD_1 src1_sel:DWORD
	v_mul_f16_sdwa v217, v9, v115 dst_sel:DWORD dst_unused:UNUSED_PAD src0_sel:WORD_1 src1_sel:DWORD
	;; [unrolled: 1-line block ×3, first 2 shown]
	v_fmac_f16_e32 v215, v8, v25
	v_mul_f16_sdwa v219, v11, v116 dst_sel:DWORD dst_unused:UNUSED_PAD src0_sel:WORD_1 src1_sel:DWORD
	v_fma_f16 v214, v10, v113, -v114
	v_fma_f16 v216, v11, v116, -v164
	v_fmac_f16_e32 v217, v9, v107
	v_fmac_f16_e32 v218, v10, v109
	;; [unrolled: 1-line block ×3, first 2 shown]
	ds_read2_b32 v[8:9], v160 offset0:56 offset1:191
	ds_read2_b32 v[10:11], v158 offset0:98 offset1:233
	v_lshrrev_b32_e32 v114, 16, v26
	v_lshrrev_b32_e32 v25, 16, v108
	;; [unrolled: 1-line block ×4, first 2 shown]
	v_mul_f16_sdwa v111, v7, v112 dst_sel:DWORD dst_unused:UNUSED_PAD src0_sel:WORD_1 src1_sel:DWORD
	v_mul_f16_sdwa v204, v4, v114 dst_sel:DWORD dst_unused:UNUSED_PAD src0_sel:WORD_1 src1_sel:DWORD
	;; [unrolled: 1-line block ×5, first 2 shown]
	v_fma_f16 v210, v7, v109, -v111
	v_fmac_f16_e32 v204, v4, v26
	v_mul_f16_sdwa v26, v4, v26 dst_sel:DWORD dst_unused:UNUSED_PAD src0_sel:WORD_1 src1_sel:DWORD
	v_fmac_f16_e32 v205, v5, v108
	v_mul_f16_sdwa v108, v5, v108 dst_sel:DWORD dst_unused:UNUSED_PAD src0_sel:WORD_1 src1_sel:DWORD
	;; [unrolled: 2-line block ×3, first 2 shown]
	v_fmac_f16_e32 v207, v7, v112
	v_fma_f16 v209, v4, v114, -v26
	v_fma_f16 v211, v5, v25, -v108
	s_waitcnt lgkmcnt(1)
	v_lshrrev_b32_e32 v4, 16, v8
	v_mul_f16_sdwa v5, v0, v8 dst_sel:DWORD dst_unused:UNUSED_PAD src0_sel:WORD_1 src1_sel:DWORD
	v_fma_f16 v208, v6, v107, -v110
	s_waitcnt lgkmcnt(0)
	v_lshrrev_b32_e32 v6, 16, v10
	v_mul_f16_sdwa v7, v1, v10 dst_sel:DWORD dst_unused:UNUSED_PAD src0_sel:WORD_1 src1_sel:DWORD
	v_mul_f16_sdwa v115, v0, v4 dst_sel:DWORD dst_unused:UNUSED_PAD src0_sel:WORD_1 src1_sel:DWORD
	v_fma_f16 v112, v0, v4, -v5
	v_lshrrev_b32_e32 v4, 16, v220
	v_mul_f16_sdwa v5, v2, v220 dst_sel:DWORD dst_unused:UNUSED_PAD src0_sel:WORD_1 src1_sel:DWORD
	v_fma_f16 v113, v1, v6, -v7
	v_lshrrev_b32_e32 v7, 16, v222
	v_mul_f16_sdwa v164, v1, v6 dst_sel:DWORD dst_unused:UNUSED_PAD src0_sel:WORD_1 src1_sel:DWORD
	v_mul_f16_sdwa v25, v3, v222 dst_sel:DWORD dst_unused:UNUSED_PAD src0_sel:WORD_1 src1_sel:DWORD
	v_fma_f16 v114, v2, v4, -v5
	v_lshrrev_b32_e32 v5, 16, v9
	v_mul_f16_sdwa v196, v2, v4 dst_sel:DWORD dst_unused:UNUSED_PAD src0_sel:WORD_1 src1_sel:DWORD
	v_mul_f16_sdwa v202, v3, v7 dst_sel:DWORD dst_unused:UNUSED_PAD src0_sel:WORD_1 src1_sel:DWORD
	v_fmac_f16_e32 v115, v0, v8
	v_fmac_f16_e32 v164, v1, v10
	v_lshrrev_b32_e32 v0, 16, v11
	v_mul_f16_sdwa v1, v20, v9 dst_sel:DWORD dst_unused:UNUSED_PAD src0_sel:WORD_1 src1_sel:DWORD
	v_mul_f16_sdwa v4, v21, v11 dst_sel:DWORD dst_unused:UNUSED_PAD src0_sel:WORD_1 src1_sel:DWORD
	v_fma_f16 v116, v3, v7, -v25
	v_mul_f16_sdwa v25, v20, v5 dst_sel:DWORD dst_unused:UNUSED_PAD src0_sel:WORD_1 src1_sel:DWORD
	v_fmac_f16_e32 v196, v2, v220
	v_fmac_f16_e32 v202, v3, v222
	v_lshrrev_b32_e32 v2, 16, v221
	v_lshrrev_b32_e32 v3, 16, v223
	v_mul_f16_sdwa v26, v21, v0 dst_sel:DWORD dst_unused:UNUSED_PAD src0_sel:WORD_1 src1_sel:DWORD
	v_mul_f16_sdwa v6, v22, v221 dst_sel:DWORD dst_unused:UNUSED_PAD src0_sel:WORD_1 src1_sel:DWORD
	v_fma_f16 v109, v20, v5, -v1
	v_fma_f16 v110, v21, v0, -v4
	v_lshrrev_b32_e32 v0, 16, v226
	v_mul_f16_sdwa v1, v17, v226 dst_sel:DWORD dst_unused:UNUSED_PAD src0_sel:WORD_1 src1_sel:DWORD
	v_fmac_f16_e32 v25, v20, v9
	v_mul_f16_sdwa v108, v23, v3 dst_sel:DWORD dst_unused:UNUSED_PAD src0_sel:WORD_1 src1_sel:DWORD
	v_mul_f16_sdwa v7, v23, v223 dst_sel:DWORD dst_unused:UNUSED_PAD src0_sel:WORD_1 src1_sel:DWORD
	v_fma_f16 v111, v22, v2, -v6
	v_fma_f16 v6, v17, v0, -v1
	v_mul_f16_sdwa v20, v17, v0 dst_sel:DWORD dst_unused:UNUSED_PAD src0_sel:WORD_1 src1_sel:DWORD
	ds_read2_b32 v[0:1], v153 offset1:135
	v_mul_f16_sdwa v107, v22, v2 dst_sel:DWORD dst_unused:UNUSED_PAD src0_sel:WORD_1 src1_sel:DWORD
	v_fmac_f16_e32 v108, v23, v223
	v_lshrrev_b32_e32 v8, 16, v224
	v_mul_f16_sdwa v9, v16, v224 dst_sel:DWORD dst_unused:UNUSED_PAD src0_sel:WORD_1 src1_sel:DWORD
	v_fma_f16 v23, v23, v3, -v7
	v_lshrrev_b32_e32 v2, 16, v228
	v_mul_f16_sdwa v3, v18, v228 dst_sel:DWORD dst_unused:UNUSED_PAD src0_sel:WORD_1 src1_sel:DWORD
	v_fmac_f16_e32 v26, v21, v11
	v_fma_f16 v5, v16, v8, -v9
	v_mul_f16_sdwa v9, v16, v8 dst_sel:DWORD dst_unused:UNUSED_PAD src0_sel:WORD_1 src1_sel:DWORD
	v_lshrrev_b32_e32 v4, 16, v230
	v_mul_f16_sdwa v8, v19, v230 dst_sel:DWORD dst_unused:UNUSED_PAD src0_sel:WORD_1 src1_sel:DWORD
	v_fma_f16 v7, v18, v2, -v3
	v_mul_f16_sdwa v21, v18, v2 dst_sel:DWORD dst_unused:UNUSED_PAD src0_sel:WORD_1 src1_sel:DWORD
	v_lshrrev_b32_e32 v2, 16, v225
	v_fmac_f16_e32 v107, v22, v221
	v_fma_f16 v10, v19, v4, -v8
	v_mul_f16_sdwa v22, v19, v4 dst_sel:DWORD dst_unused:UNUSED_PAD src0_sel:WORD_1 src1_sel:DWORD
	v_lshrrev_b32_e32 v220, 16, v229
	v_mul_f16_sdwa v4, v12, v2 dst_sel:DWORD dst_unused:UNUSED_PAD src0_sel:WORD_1 src1_sel:DWORD
	v_fmac_f16_e32 v20, v17, v226
	v_lshrrev_b32_e32 v3, 16, v227
	v_mul_f16_sdwa v17, v12, v225 dst_sel:DWORD dst_unused:UNUSED_PAD src0_sel:WORD_1 src1_sel:DWORD
	v_mul_f16_sdwa v11, v14, v220 dst_sel:DWORD dst_unused:UNUSED_PAD src0_sel:WORD_1 src1_sel:DWORD
	v_fmac_f16_e32 v4, v12, v225
	s_waitcnt lgkmcnt(0)
	v_lshrrev_b32_e32 v225, 16, v0
	v_fmac_f16_e32 v22, v19, v230
	v_mul_f16_sdwa v8, v13, v3 dst_sel:DWORD dst_unused:UNUSED_PAD src0_sel:WORD_1 src1_sel:DWORD
	v_sub_f16_e32 v19, v215, v217
	v_sub_f16_e32 v222, v219, v218
	v_fmac_f16_e32 v11, v14, v229
	v_mul_f16_sdwa v223, v14, v229 dst_sel:DWORD dst_unused:UNUSED_PAD src0_sel:WORD_1 src1_sel:DWORD
	v_add_f16_e32 v229, v0, v215
	v_add_f16_e32 v230, v225, v212
	v_fmac_f16_e32 v21, v18, v228
	v_fmac_f16_e32 v8, v13, v227
	v_mul_f16_sdwa v18, v13, v227 dst_sel:DWORD dst_unused:UNUSED_PAD src0_sel:WORD_1 src1_sel:DWORD
	v_add_f16_e32 v19, v19, v222
	v_sub_f16_e32 v222, v212, v213
	v_sub_f16_e32 v227, v216, v214
	v_add_f16_e32 v229, v229, v217
	v_add_f16_e32 v230, v230, v213
	v_lshrrev_b32_e32 v221, 16, v231
	v_fma_f16 v17, v12, v2, -v17
	v_add_f16_e32 v222, v222, v227
	v_add_f16_e32 v227, v229, v218
	;; [unrolled: 1-line block ×3, first 2 shown]
	v_fmac_f16_e32 v9, v16, v224
	v_mul_f16_sdwa v16, v15, v221 dst_sel:DWORD dst_unused:UNUSED_PAD src0_sel:WORD_1 src1_sel:DWORD
	v_add_f16_e32 v226, v217, v218
	v_add_f16_e32 v2, v227, v219
	;; [unrolled: 1-line block ×4, first 2 shown]
	v_sub_f16_e32 v232, v215, v219
	v_sub_f16_e32 v236, v217, v218
	v_fma_f16 v18, v13, v3, -v18
	v_fma_f16 v13, v14, v220, -v223
	v_pack_b32_f16 v220, v2, v227
	v_add_f16_e32 v2, v215, v219
	v_sub_f16_e32 v215, v217, v215
	v_sub_f16_e32 v217, v218, v219
	v_add_f16_e32 v218, v212, v216
	v_fmac_f16_e32 v16, v15, v231
	v_mul_f16_sdwa v224, v15, v231 dst_sel:DWORD dst_unused:UNUSED_PAD src0_sel:WORD_1 src1_sel:DWORD
	v_fma_f16 v226, -0.5, v226, v0
	v_sub_f16_e32 v231, v212, v216
	v_fma_f16 v228, -0.5, v228, v225
	v_sub_f16_e32 v234, v213, v214
	v_fma_f16 v0, -0.5, v2, v0
	v_fmac_f16_e32 v225, -0.5, v218
	v_fmamk_f16 v233, v231, 0xbb9c, v226
	v_fmamk_f16 v235, v232, 0x3b9c, v228
	v_sub_f16_e32 v212, v213, v212
	v_fmamk_f16 v213, v234, 0x3b9c, v0
	v_fmac_f16_e32 v0, 0xbb9c, v234
	v_sub_f16_e32 v214, v214, v216
	v_fmamk_f16 v216, v236, 0xbb9c, v225
	v_fmac_f16_e32 v225, 0x3b9c, v236
	v_fmac_f16_e32 v233, 0xb8b4, v234
	;; [unrolled: 1-line block ×3, first 2 shown]
	v_add_f16_e32 v215, v215, v217
	v_fmac_f16_e32 v213, 0xb8b4, v231
	v_fmac_f16_e32 v0, 0x38b4, v231
	v_add_f16_e32 v212, v212, v214
	v_fmac_f16_e32 v216, 0x38b4, v232
	v_fmac_f16_e32 v225, 0xb8b4, v232
	;; [unrolled: 1-line block ×8, first 2 shown]
	v_fma_f16 v12, v15, v221, -v224
	v_pack_b32_f16 v221, v233, v235
	ds_read2_b32 v[14:15], v162 offset0:14 offset1:149
	v_pack_b32_f16 v212, v213, v216
	v_pack_b32_f16 v0, v0, v225
	ds_read2_b32 v[2:3], v146 offset0:28 offset1:163
	s_waitcnt lgkmcnt(0)
	s_barrier
	v_fmac_f16_e32 v226, 0x3b9c, v231
	buffer_gl0_inv
	ds_write2_b32 v200, v220, v221 offset1:10
	ds_write2_b32 v200, v212, v0 offset0:20 offset1:30
	v_lshrrev_b32_e32 v212, 16, v1
	v_sub_f16_e32 v213, v204, v205
	v_fmac_f16_e32 v226, 0x38b4, v234
	v_sub_f16_e32 v214, v207, v206
	v_add_f16_e32 v216, v1, v204
	v_add_f16_e32 v217, v212, v209
	v_fmac_f16_e32 v228, 0xbb9c, v232
	v_fmac_f16_e32 v226, 0x34f2, v19
	v_add_f16_e32 v0, v213, v214
	v_sub_f16_e32 v19, v209, v211
	v_sub_f16_e32 v214, v210, v208
	v_add_f16_e32 v216, v216, v205
	v_add_f16_e32 v217, v217, v211
	v_fmac_f16_e32 v228, 0xb8b4, v236
	v_add_f16_e32 v213, v205, v206
	v_add_f16_e32 v19, v19, v214
	;; [unrolled: 1-line block ×6, first 2 shown]
	v_fma_f16 v213, -0.5, v213, v1
	v_add_f16_e32 v214, v214, v207
	v_add_f16_e32 v216, v216, v210
	v_sub_f16_e32 v218, v209, v210
	v_fma_f16 v215, -0.5, v215, v212
	v_sub_f16_e32 v219, v204, v207
	v_sub_f16_e32 v221, v211, v208
	v_pack_b32_f16 v214, v214, v216
	v_add_f16_e32 v216, v209, v210
	v_sub_f16_e32 v224, v205, v206
	v_fmac_f16_e32 v228, 0x34f2, v222
	v_fmac_f16_e32 v1, -0.5, v217
	v_sub_f16_e32 v204, v205, v204
	v_sub_f16_e32 v205, v206, v207
	v_fmac_f16_e32 v212, -0.5, v216
	v_fmamk_f16 v220, v218, 0xbb9c, v213
	v_fmamk_f16 v223, v219, 0x3b9c, v215
	v_pack_b32_f16 v222, v226, v228
	v_sub_f16_e32 v206, v211, v209
	v_fmamk_f16 v207, v221, 0x3b9c, v1
	v_fmac_f16_e32 v1, 0xbb9c, v221
	v_sub_f16_e32 v208, v208, v210
	v_fmamk_f16 v209, v224, 0xbb9c, v212
	v_fmac_f16_e32 v212, 0x3b9c, v224
	v_add_f16_e32 v204, v204, v205
	v_fmac_f16_e32 v213, 0x3b9c, v218
	v_add_f16_e32 v205, v14, v115
	v_fmac_f16_e32 v220, 0xb8b4, v221
	v_fmac_f16_e32 v223, 0x38b4, v224
	;; [unrolled: 1-line block ×3, first 2 shown]
	ds_write_b32 v200, v222 offset:160
	v_add_f16_e32 v200, v206, v208
	v_fmac_f16_e32 v212, 0xb8b4, v219
	v_fmac_f16_e32 v215, 0xbb9c, v219
	;; [unrolled: 1-line block ×3, first 2 shown]
	v_add_f16_e32 v205, v205, v164
	v_fmac_f16_e32 v220, 0x34f2, v0
	v_fmac_f16_e32 v223, 0x34f2, v19
	;; [unrolled: 1-line block ×7, first 2 shown]
	v_lshrrev_b32_e32 v0, 16, v14
	v_add_f16_e32 v205, v205, v196
	v_fmac_f16_e32 v207, 0xb8b4, v218
	v_add_f16_e32 v208, v164, v196
	v_add_f16_e32 v210, v113, v114
	v_pack_b32_f16 v220, v220, v223
	v_pack_b32_f16 v1, v1, v212
	v_fmac_f16_e32 v209, 0x34f2, v200
	v_fmac_f16_e32 v215, 0x34f2, v19
	v_sub_f16_e32 v19, v115, v164
	v_sub_f16_e32 v200, v202, v196
	v_add_f16_e32 v206, v0, v112
	v_sub_f16_e32 v212, v115, v202
	v_add_f16_e32 v205, v205, v202
	v_add_f16_e32 v216, v115, v202
	v_sub_f16_e32 v217, v164, v196
	v_sub_f16_e32 v115, v164, v115
	;; [unrolled: 1-line block ×3, first 2 shown]
	v_add_f16_e32 v202, v112, v116
	v_fmac_f16_e32 v207, 0x34f2, v204
	v_fma_f16 v208, -0.5, v208, v14
	v_sub_f16_e32 v211, v112, v116
	v_fma_f16 v210, -0.5, v210, v0
	ds_write2_b32 v199, v214, v220 offset1:10
	v_add_f16_e32 v206, v206, v113
	v_sub_f16_e32 v214, v113, v114
	v_fma_f16 v14, -0.5, v216, v14
	v_fmac_f16_e32 v0, -0.5, v202
	v_pack_b32_f16 v204, v207, v209
	v_pack_b32_f16 v207, v213, v215
	v_add_f16_e32 v19, v19, v200
	v_sub_f16_e32 v200, v112, v113
	v_sub_f16_e32 v209, v116, v114
	v_fmamk_f16 v213, v211, 0xbb9c, v208
	v_fmamk_f16 v215, v212, 0x3b9c, v210
	v_fmac_f16_e32 v208, 0x3b9c, v211
	v_fmac_f16_e32 v210, 0xbb9c, v212
	v_add_f16_e32 v206, v206, v114
	v_fmamk_f16 v196, v214, 0x3b9c, v14
	v_fmac_f16_e32 v14, 0xbb9c, v214
	v_sub_f16_e32 v112, v113, v112
	v_sub_f16_e32 v113, v114, v116
	v_fmamk_f16 v114, v217, 0xbb9c, v0
	v_fmac_f16_e32 v0, 0x3b9c, v217
	v_add_f16_e32 v200, v200, v209
	v_fmac_f16_e32 v213, 0xb8b4, v214
	v_fmac_f16_e32 v215, 0x38b4, v217
	;; [unrolled: 1-line block ×4, first 2 shown]
	v_add_f16_e32 v115, v115, v164
	v_fmac_f16_e32 v196, 0xb8b4, v211
	v_fmac_f16_e32 v14, 0x38b4, v211
	v_add_f16_e32 v112, v112, v113
	v_fmac_f16_e32 v114, 0x38b4, v212
	v_fmac_f16_e32 v0, 0xb8b4, v212
	;; [unrolled: 3-line block ×3, first 2 shown]
	v_fmac_f16_e32 v208, 0x34f2, v19
	v_fmac_f16_e32 v210, 0x34f2, v200
	;; [unrolled: 1-line block ×6, first 2 shown]
	v_pack_b32_f16 v205, v205, v206
	v_pack_b32_f16 v112, v213, v215
	ds_write2_b32 v199, v204, v1 offset0:20 offset1:30
	ds_write_b32 v199, v207 offset:160
	v_pack_b32_f16 v1, v208, v210
	v_pack_b32_f16 v19, v196, v114
	;; [unrolled: 1-line block ×3, first 2 shown]
	ds_write2_b32 v203, v205, v112 offset1:10
	ds_write2_b32 v203, v19, v0 offset0:20 offset1:30
	v_sub_f16_e32 v0, v25, v26
	v_sub_f16_e32 v14, v108, v107
	ds_write_b32 v203, v1 offset:160
	v_sub_f16_e32 v1, v109, v110
	v_sub_f16_e32 v19, v23, v111
	v_lshrrev_b32_e32 v112, 16, v15
	v_add_f16_e32 v0, v0, v14
	v_add_f16_e32 v14, v15, v25
	;; [unrolled: 1-line block ×8, first 2 shown]
	v_fma_f16 v113, -0.5, v113, v15
	v_add_f16_e32 v19, v19, v110
	v_sub_f16_e32 v115, v109, v23
	v_fma_f16 v114, -0.5, v114, v112
	v_sub_f16_e32 v116, v25, v108
	v_add_f16_e32 v14, v14, v107
	v_sub_f16_e32 v196, v110, v111
	v_add_f16_e32 v19, v19, v111
	v_fmac_f16_e32 v15, -0.5, v202
	v_fmamk_f16 v164, v115, 0xbb9c, v113
	v_fmamk_f16 v199, v116, 0x3b9c, v114
	v_sub_f16_e32 v200, v26, v107
	v_add_f16_e32 v14, v14, v108
	v_add_f16_e32 v19, v19, v23
	;; [unrolled: 1-line block ×3, first 2 shown]
	v_sub_f16_e32 v25, v26, v25
	v_sub_f16_e32 v26, v107, v108
	;; [unrolled: 1-line block ×4, first 2 shown]
	v_fmamk_f16 v108, v196, 0x3b9c, v15
	v_fmac_f16_e32 v15, 0xbb9c, v196
	v_fmac_f16_e32 v113, 0x3b9c, v115
	;; [unrolled: 1-line block ×4, first 2 shown]
	v_fmac_f16_e32 v112, -0.5, v203
	v_add_f16_e32 v25, v25, v26
	v_fmac_f16_e32 v15, 0x38b4, v115
	v_add_f16_e32 v23, v107, v23
	v_fmac_f16_e32 v108, 0xb8b4, v115
	v_fmac_f16_e32 v113, 0x38b4, v196
	v_sub_f16_e32 v26, v9, v20
	v_sub_f16_e32 v107, v22, v21
	v_fmac_f16_e32 v164, 0x34f2, v0
	v_fmamk_f16 v109, v200, 0xbb9c, v112
	v_fmac_f16_e32 v112, 0x3b9c, v200
	v_fmac_f16_e32 v199, 0x34f2, v1
	v_fmac_f16_e32 v15, 0x34f2, v25
	v_fmac_f16_e32 v108, 0x34f2, v25
	v_fmac_f16_e32 v113, 0x34f2, v0
	v_add_f16_e32 v0, v26, v107
	v_lshrrev_b32_e32 v25, 16, v2
	v_add_f16_e32 v26, v20, v21
	v_add_f16_e32 v110, v6, v7
	v_fmac_f16_e32 v112, 0xb8b4, v116
	v_pack_b32_f16 v14, v14, v19
	v_pack_b32_f16 v19, v164, v199
	v_fmac_f16_e32 v109, 0x38b4, v116
	v_fmac_f16_e32 v114, 0xbb9c, v116
	v_add_f16_e32 v111, v2, v9
	v_add_f16_e32 v115, v25, v5
	v_fma_f16 v26, -0.5, v26, v2
	v_sub_f16_e32 v116, v5, v10
	v_fma_f16 v110, -0.5, v110, v25
	v_sub_f16_e32 v164, v9, v22
	v_fmac_f16_e32 v112, 0x34f2, v23
	v_fmac_f16_e32 v109, 0x34f2, v23
	;; [unrolled: 1-line block ×3, first 2 shown]
	v_sub_f16_e32 v23, v5, v6
	v_sub_f16_e32 v107, v10, v7
	v_add_f16_e32 v111, v111, v20
	v_add_f16_e32 v115, v115, v6
	v_fmamk_f16 v196, v116, 0xbb9c, v26
	v_sub_f16_e32 v199, v6, v7
	v_fmamk_f16 v200, v164, 0x3b9c, v110
	v_sub_f16_e32 v202, v20, v21
	v_add_f16_e32 v23, v23, v107
	v_add_f16_e32 v107, v111, v21
	;; [unrolled: 1-line block ×3, first 2 shown]
	v_fmac_f16_e32 v196, 0xb8b4, v199
	v_fmac_f16_e32 v200, 0x38b4, v202
	;; [unrolled: 1-line block ×3, first 2 shown]
	v_add_f16_e32 v1, v107, v22
	v_add_f16_e32 v107, v111, v10
	v_fmac_f16_e32 v196, 0x34f2, v0
	v_fmac_f16_e32 v200, 0x34f2, v23
	v_pack_b32_f16 v15, v15, v112
	v_pack_b32_f16 v108, v108, v109
	v_pack_b32_f16 v1, v1, v107
	v_pack_b32_f16 v109, v113, v114
	v_pack_b32_f16 v107, v196, v200
	ds_write2_b32 v201, v14, v19 offset1:10
	ds_write2_b32 v201, v108, v15 offset0:20 offset1:30
	ds_write_b32 v201, v109 offset:160
	v_add_f16_e32 v14, v9, v22
	v_sub_f16_e32 v9, v20, v9
	ds_write2_b32 v197, v1, v107 offset1:10
	v_add_f16_e32 v1, v5, v10
	v_sub_f16_e32 v5, v6, v5
	v_fma_f16 v2, -0.5, v14, v2
	v_sub_f16_e32 v6, v7, v10
	v_sub_f16_e32 v15, v21, v22
	v_fmac_f16_e32 v25, -0.5, v1
	v_fmac_f16_e32 v26, 0x3b9c, v116
	v_fmamk_f16 v7, v199, 0x3b9c, v2
	v_fmac_f16_e32 v2, 0xbb9c, v199
	v_add_f16_e32 v5, v5, v6
	v_fmamk_f16 v6, v202, 0xbb9c, v25
	v_add_f16_e32 v1, v9, v15
	v_fmac_f16_e32 v25, 0x3b9c, v202
	v_fmac_f16_e32 v7, 0xb8b4, v116
	;; [unrolled: 1-line block ×9, first 2 shown]
	v_add_f16_e32 v1, v3, v4
	v_fmac_f16_e32 v25, 0x34f2, v5
	v_fmac_f16_e32 v26, 0x34f2, v0
	v_lshrrev_b32_e32 v9, 16, v3
	v_pack_b32_f16 v5, v7, v6
	v_add_f16_e32 v0, v1, v8
	v_sub_f16_e32 v1, v4, v8
	v_sub_f16_e32 v6, v16, v11
	v_sub_f16_e32 v7, v17, v18
	v_sub_f16_e32 v10, v12, v13
	v_add_f16_e32 v0, v0, v11
	v_sub_f16_e32 v15, v4, v16
	v_add_f16_e32 v1, v1, v6
	v_add_f16_e32 v6, v9, v17
	;; [unrolled: 1-line block ×4, first 2 shown]
	v_sub_f16_e32 v19, v8, v11
	v_sub_f16_e32 v8, v8, v4
	v_add_f16_e32 v4, v4, v16
	v_add_f16_e32 v6, v6, v18
	;; [unrolled: 1-line block ×4, first 2 shown]
	v_sub_f16_e32 v11, v11, v16
	v_sub_f16_e32 v16, v18, v13
	v_sub_f16_e32 v18, v18, v17
	v_fma_f16 v10, -0.5, v10, v3
	v_fmac_f16_e32 v3, -0.5, v4
	v_sub_f16_e32 v4, v17, v12
	v_add_f16_e32 v17, v17, v12
	v_add_f16_e32 v6, v6, v13
	v_sub_f16_e32 v13, v13, v12
	v_fma_f16 v20, -0.5, v20, v9
	v_fmac_f16_e32 v110, 0xbb9c, v164
	v_fmac_f16_e32 v9, -0.5, v17
	v_add_f16_e32 v8, v8, v11
	v_add_f16_e32 v11, v18, v13
	v_fmamk_f16 v13, v4, 0xbb9c, v10
	v_fmamk_f16 v17, v15, 0x3b9c, v20
	;; [unrolled: 1-line block ×3, first 2 shown]
	v_fmac_f16_e32 v3, 0xbb9c, v16
	v_add_f16_e32 v6, v6, v12
	v_fmamk_f16 v12, v19, 0xbb9c, v9
	v_fmac_f16_e32 v9, 0x3b9c, v19
	v_fmac_f16_e32 v10, 0x3b9c, v4
	;; [unrolled: 1-line block ×21, first 2 shown]
	v_pack_b32_f16 v2, v2, v25
	v_pack_b32_f16 v14, v26, v110
	;; [unrolled: 1-line block ×7, first 2 shown]
	ds_write2_b32 v197, v5, v2 offset0:20 offset1:30
	ds_write_b32 v197, v14 offset:160
	ds_write2_b32 v198, v0, v1 offset1:10
	ds_write2_b32 v198, v4, v3 offset0:20 offset1:30
	ds_write_b32 v198, v6 offset:160
	s_waitcnt lgkmcnt(0)
	s_barrier
	buffer_gl0_inv
	ds_read2_b32 v[0:1], v143 offset0:70 offset1:205
	ds_read2_b32 v[2:3], v156 offset0:12 offset1:147
	;; [unrolled: 1-line block ×3, first 2 shown]
	s_waitcnt lgkmcnt(2)
	v_lshrrev_b32_e32 v8, 16, v0
	v_mul_f16_sdwa v6, v105, v0 dst_sel:DWORD dst_unused:UNUSED_PAD src0_sel:WORD_1 src1_sel:DWORD
	s_waitcnt lgkmcnt(1)
	v_lshrrev_b32_e32 v9, 16, v2
	v_lshrrev_b32_e32 v12, 16, v1
	;; [unrolled: 1-line block ×3, first 2 shown]
	v_mul_f16_sdwa v14, v105, v8 dst_sel:DWORD dst_unused:UNUSED_PAD src0_sel:WORD_1 src1_sel:DWORD
	v_fma_f16 v10, v105, v8, -v6
	ds_read2_b32 v[6:7], v137 offset0:26 offset1:161
	v_mul_f16_sdwa v15, v106, v9 dst_sel:DWORD dst_unused:UNUSED_PAD src0_sel:WORD_1 src1_sel:DWORD
	v_mul_f16_sdwa v16, v103, v12 dst_sel:DWORD dst_unused:UNUSED_PAD src0_sel:WORD_1 src1_sel:DWORD
	;; [unrolled: 1-line block ×3, first 2 shown]
	v_fmac_f16_e32 v14, v105, v0
	v_mul_f16_sdwa v0, v103, v1 dst_sel:DWORD dst_unused:UNUSED_PAD src0_sel:WORD_1 src1_sel:DWORD
	v_mul_f16_sdwa v11, v106, v2 dst_sel:DWORD dst_unused:UNUSED_PAD src0_sel:WORD_1 src1_sel:DWORD
	v_fmac_f16_e32 v15, v106, v2
	v_fmac_f16_e32 v16, v103, v1
	;; [unrolled: 1-line block ×3, first 2 shown]
	v_mul_f16_sdwa v8, v104, v3 dst_sel:DWORD dst_unused:UNUSED_PAD src0_sel:WORD_1 src1_sel:DWORD
	v_fma_f16 v12, v103, v12, -v0
	ds_read2_b32 v[0:1], v158 offset0:98 offset1:233
	ds_read2_b32 v[2:3], v155 offset0:40 offset1:175
	v_fma_f16 v11, v106, v9, -v11
	s_waitcnt lgkmcnt(3)
	v_lshrrev_b32_e32 v9, 16, v4
	v_lshrrev_b32_e32 v20, 16, v5
	v_mul_f16_sdwa v18, v101, v4 dst_sel:DWORD dst_unused:UNUSED_PAD src0_sel:WORD_1 src1_sel:DWORD
	v_fma_f16 v13, v104, v13, -v8
	v_mul_f16_sdwa v22, v101, v9 dst_sel:DWORD dst_unused:UNUSED_PAD src0_sel:WORD_1 src1_sel:DWORD
	s_waitcnt lgkmcnt(2)
	v_lshrrev_b32_e32 v8, 16, v6
	v_mul_f16_sdwa v19, v102, v6 dst_sel:DWORD dst_unused:UNUSED_PAD src0_sel:WORD_1 src1_sel:DWORD
	v_lshrrev_b32_e32 v21, 16, v7
	v_mul_f16_sdwa v25, v99, v20 dst_sel:DWORD dst_unused:UNUSED_PAD src0_sel:WORD_1 src1_sel:DWORD
	v_fmac_f16_e32 v22, v101, v4
	v_mul_f16_sdwa v4, v99, v5 dst_sel:DWORD dst_unused:UNUSED_PAD src0_sel:WORD_1 src1_sel:DWORD
	v_fma_f16 v18, v101, v9, -v18
	v_fma_f16 v19, v102, v8, -v19
	v_mul_f16_sdwa v23, v102, v8 dst_sel:DWORD dst_unused:UNUSED_PAD src0_sel:WORD_1 src1_sel:DWORD
	v_mul_f16_sdwa v26, v100, v21 dst_sel:DWORD dst_unused:UNUSED_PAD src0_sel:WORD_1 src1_sel:DWORD
	v_fmac_f16_e32 v25, v99, v5
	v_mul_f16_sdwa v8, v100, v7 dst_sel:DWORD dst_unused:UNUSED_PAD src0_sel:WORD_1 src1_sel:DWORD
	v_fma_f16 v20, v99, v20, -v4
	s_waitcnt lgkmcnt(1)
	v_lshrrev_b32_e32 v9, 16, v0
	ds_read2_b32 v[4:5], v140 offset0:112 offset1:247
	v_fmac_f16_e32 v23, v102, v6
	v_fmac_f16_e32 v26, v100, v7
	s_waitcnt lgkmcnt(1)
	v_lshrrev_b32_e32 v99, 16, v2
	ds_read2_b32 v[6:7], v150 offset0:54 offset1:189
	v_fma_f16 v21, v100, v21, -v8
	v_mul_f16_sdwa v100, v97, v9 dst_sel:DWORD dst_unused:UNUSED_PAD src0_sel:WORD_1 src1_sel:DWORD
	v_lshrrev_b32_e32 v102, 16, v1
	v_lshrrev_b32_e32 v103, 16, v3
	v_mul_f16_sdwa v101, v97, v0 dst_sel:DWORD dst_unused:UNUSED_PAD src0_sel:WORD_1 src1_sel:DWORD
	v_mul_f16_sdwa v8, v98, v2 dst_sel:DWORD dst_unused:UNUSED_PAD src0_sel:WORD_1 src1_sel:DWORD
	;; [unrolled: 1-line block ×5, first 2 shown]
	v_fmac_f16_e32 v100, v97, v0
	v_mul_f16_sdwa v0, v91, v1 dst_sel:DWORD dst_unused:UNUSED_PAD src0_sel:WORD_1 src1_sel:DWORD
	v_fma_f16 v99, v98, v99, -v8
	v_fmac_f16_e32 v104, v98, v2
	v_fmac_f16_e32 v105, v91, v1
	;; [unrolled: 1-line block ×3, first 2 shown]
	v_mul_f16_sdwa v8, v92, v3 dst_sel:DWORD dst_unused:UNUSED_PAD src0_sel:WORD_1 src1_sel:DWORD
	v_fma_f16 v91, v91, v102, -v0
	ds_read2_b32 v[0:1], v157 offset0:62 offset1:197
	ds_read2_b32 v[2:3], v134 offset0:68 offset1:203
	v_fma_f16 v101, v97, v9, -v101
	s_waitcnt lgkmcnt(3)
	v_lshrrev_b32_e32 v9, 16, v4
	v_mul_f16_sdwa v97, v81, v4 dst_sel:DWORD dst_unused:UNUSED_PAD src0_sel:WORD_1 src1_sel:DWORD
	s_waitcnt lgkmcnt(2)
	v_lshrrev_b32_e32 v98, 16, v6
	v_mul_f16_sdwa v102, v82, v6 dst_sel:DWORD dst_unused:UNUSED_PAD src0_sel:WORD_1 src1_sel:DWORD
	v_fma_f16 v92, v92, v103, -v8
	v_mul_f16_sdwa v103, v81, v9 dst_sel:DWORD dst_unused:UNUSED_PAD src0_sel:WORD_1 src1_sel:DWORD
	v_fma_f16 v97, v81, v9, -v97
	v_lshrrev_b32_e32 v107, 16, v5
	ds_read2_b32 v[8:9], v153 offset1:135
	v_fma_f16 v102, v82, v98, -v102
	v_mul_f16_sdwa v98, v82, v98 dst_sel:DWORD dst_unused:UNUSED_PAD src0_sel:WORD_1 src1_sel:DWORD
	v_fmac_f16_e32 v103, v81, v4
	v_mul_f16_sdwa v81, v83, v107 dst_sel:DWORD dst_unused:UNUSED_PAD src0_sel:WORD_1 src1_sel:DWORD
	v_mul_f16_sdwa v4, v83, v5 dst_sel:DWORD dst_unused:UNUSED_PAD src0_sel:WORD_1 src1_sel:DWORD
	v_lshrrev_b32_e32 v108, 16, v7
	v_mul_f16_sdwa v110, v84, v7 dst_sel:DWORD dst_unused:UNUSED_PAD src0_sel:WORD_1 src1_sel:DWORD
	v_fmac_f16_e32 v98, v82, v6
	v_fmac_f16_e32 v81, v83, v5
	v_fma_f16 v82, v83, v107, -v4
	s_waitcnt lgkmcnt(2)
	v_lshrrev_b32_e32 v4, 16, v0
	s_waitcnt lgkmcnt(1)
	v_lshrrev_b32_e32 v5, 16, v2
	v_mul_f16_sdwa v109, v84, v108 dst_sel:DWORD dst_unused:UNUSED_PAD src0_sel:WORD_1 src1_sel:DWORD
	v_fma_f16 v83, v84, v108, -v110
	v_mul_f16_sdwa v6, v85, v0 dst_sel:DWORD dst_unused:UNUSED_PAD src0_sel:WORD_1 src1_sel:DWORD
	v_mul_f16_sdwa v107, v85, v4 dst_sel:DWORD dst_unused:UNUSED_PAD src0_sel:WORD_1 src1_sel:DWORD
	;; [unrolled: 1-line block ×3, first 2 shown]
	v_fmac_f16_e32 v109, v84, v7
	v_lshrrev_b32_e32 v7, 16, v1
	v_mul_f16_sdwa v84, v86, v2 dst_sel:DWORD dst_unused:UNUSED_PAD src0_sel:WORD_1 src1_sel:DWORD
	v_fma_f16 v110, v85, v4, -v6
	v_fmac_f16_e32 v107, v85, v0
	v_fmac_f16_e32 v108, v86, v2
	s_waitcnt lgkmcnt(0)
	v_lshrrev_b32_e32 v85, 16, v8
	v_add_f16_e32 v2, v10, v11
	v_add_f16_e32 v4, v14, v15
	v_mul_f16_sdwa v111, v71, v7 dst_sel:DWORD dst_unused:UNUSED_PAD src0_sel:WORD_1 src1_sel:DWORD
	v_fma_f16 v84, v86, v5, -v84
	v_lshrrev_b32_e32 v0, 16, v3
	v_add_f16_e32 v5, v85, v10
	v_sub_f16_e32 v10, v10, v11
	v_fmac_f16_e32 v85, -0.5, v2
	v_add_f16_e32 v2, v8, v14
	v_fma_f16 v8, -0.5, v4, v8
	v_sub_f16_e32 v14, v14, v15
	v_fmac_f16_e32 v111, v71, v1
	v_mul_f16_sdwa v1, v71, v1 dst_sel:DWORD dst_unused:UNUSED_PAD src0_sel:WORD_1 src1_sel:DWORD
	v_mul_f16_sdwa v86, v72, v0 dst_sel:DWORD dst_unused:UNUSED_PAD src0_sel:WORD_1 src1_sel:DWORD
	;; [unrolled: 1-line block ×3, first 2 shown]
	v_add_f16_e32 v5, v5, v11
	v_add_f16_e32 v2, v2, v15
	v_fmamk_f16 v6, v10, 0xbaee, v8
	v_fmamk_f16 v11, v14, 0x3aee, v85
	v_fmac_f16_e32 v86, v72, v3
	v_fma_f16 v15, v71, v7, -v1
	v_fma_f16 v71, v72, v0, -v4
	v_pack_b32_f16 v72, v2, v5
	v_pack_b32_f16 v11, v6, v11
	ds_read2_b32 v[0:1], v162 offset0:14 offset1:149
	ds_read2_b32 v[2:3], v146 offset0:28 offset1:163
	ds_read2_b32 v[4:5], v161 offset0:42 offset1:177
	ds_read2_b32 v[6:7], v160 offset0:56 offset1:191
	v_fmac_f16_e32 v8, 0x3aee, v10
	v_add_f16_e32 v10, v16, v17
	v_fmac_f16_e32 v85, 0xbaee, v14
	v_lshrrev_b32_e32 v14, 16, v9
	v_add_f16_e32 v112, v12, v13
	v_add_f16_e32 v113, v9, v16
	v_fmac_f16_e32 v9, -0.5, v10
	v_sub_f16_e32 v10, v12, v13
	v_add_f16_e32 v12, v14, v12
	v_fmac_f16_e32 v14, -0.5, v112
	v_sub_f16_e32 v16, v16, v17
	s_waitcnt lgkmcnt(0)
	s_barrier
	buffer_gl0_inv
	v_pack_b32_f16 v8, v8, v85
	v_fmamk_f16 v85, v10, 0xbaee, v9
	v_fmac_f16_e32 v9, 0x3aee, v10
	v_fmamk_f16 v10, v16, 0x3aee, v14
	v_fmac_f16_e32 v14, 0xbaee, v16
	v_add_f16_e32 v16, v113, v17
	v_add_f16_e32 v12, v12, v13
	ds_write2_b32 v183, v72, v11 offset1:50
	v_lshrrev_b32_e32 v11, 16, v0
	ds_write_b32 v183, v8 offset:400
	v_pack_b32_f16 v8, v9, v14
	v_pack_b32_f16 v9, v16, v12
	v_add_f16_e32 v13, v18, v19
	v_add_f16_e32 v12, v11, v18
	;; [unrolled: 1-line block ×3, first 2 shown]
	v_pack_b32_f16 v10, v85, v10
	v_add_f16_e32 v16, v22, v23
	v_fmac_f16_e32 v11, -0.5, v13
	v_add_f16_e32 v12, v12, v19
	v_add_f16_e32 v13, v14, v23
	v_sub_f16_e32 v14, v22, v23
	v_sub_f16_e32 v17, v18, v19
	v_fma_f16 v0, -0.5, v16, v0
	ds_write2_b32 v191, v9, v10 offset1:50
	ds_write_b32 v191, v8 offset:400
	v_pack_b32_f16 v8, v13, v12
	v_fmamk_f16 v10, v14, 0x3aee, v11
	v_add_f16_e32 v12, v25, v26
	v_lshrrev_b32_e32 v13, 16, v1
	v_fmac_f16_e32 v11, 0xbaee, v14
	v_add_f16_e32 v14, v20, v21
	v_fmamk_f16 v9, v17, 0xbaee, v0
	v_fmac_f16_e32 v0, 0x3aee, v17
	v_add_f16_e32 v16, v1, v25
	v_fmac_f16_e32 v1, -0.5, v12
	v_add_f16_e32 v12, v13, v20
	v_sub_f16_e32 v17, v20, v21
	v_fmac_f16_e32 v13, -0.5, v14
	v_sub_f16_e32 v14, v25, v26
	v_pack_b32_f16 v9, v9, v10
	v_pack_b32_f16 v0, v0, v11
	v_fmamk_f16 v10, v17, 0xbaee, v1
	v_fmac_f16_e32 v1, 0x3aee, v17
	v_fmamk_f16 v11, v14, 0x3aee, v13
	v_fmac_f16_e32 v13, 0xbaee, v14
	v_add_f16_e32 v14, v16, v26
	v_add_f16_e32 v12, v12, v21
	ds_write2_b32 v188, v8, v9 offset1:50
	ds_write_b32 v188, v0 offset:400
	v_add_f16_e32 v9, v101, v99
	v_pack_b32_f16 v0, v1, v13
	v_lshrrev_b32_e32 v1, 16, v2
	v_pack_b32_f16 v10, v10, v11
	v_add_f16_e32 v11, v100, v104
	v_pack_b32_f16 v8, v14, v12
	v_sub_f16_e32 v13, v101, v99
	v_add_f16_e32 v12, v1, v101
	v_fmac_f16_e32 v1, -0.5, v9
	v_add_f16_e32 v9, v2, v100
	v_fma_f16 v2, -0.5, v11, v2
	v_sub_f16_e32 v11, v100, v104
	ds_write2_b32 v187, v8, v10 offset1:50
	v_add_f16_e32 v8, v12, v99
	v_add_f16_e32 v9, v9, v104
	v_fmamk_f16 v10, v13, 0xbaee, v2
	v_fmamk_f16 v12, v11, 0x3aee, v1
	v_fmac_f16_e32 v2, 0x3aee, v13
	v_fmac_f16_e32 v1, 0xbaee, v11
	ds_write_b32 v187, v0 offset:400
	v_pack_b32_f16 v0, v9, v8
	v_pack_b32_f16 v8, v10, v12
	v_add_f16_e32 v9, v105, v106
	v_pack_b32_f16 v1, v2, v1
	v_lshrrev_b32_e32 v2, 16, v3
	v_add_f16_e32 v10, v91, v92
	v_add_f16_e32 v11, v3, v105
	v_fmac_f16_e32 v3, -0.5, v9
	v_sub_f16_e32 v9, v91, v92
	v_add_f16_e32 v12, v2, v91
	v_fmac_f16_e32 v2, -0.5, v10
	v_sub_f16_e32 v10, v105, v106
	ds_write2_b32 v190, v0, v8 offset1:50
	ds_write_b32 v190, v1 offset:400
	v_fmamk_f16 v0, v9, 0xbaee, v3
	v_fmac_f16_e32 v3, 0x3aee, v9
	v_lshrrev_b32_e32 v8, 16, v4
	v_fmamk_f16 v1, v10, 0x3aee, v2
	v_fmac_f16_e32 v2, 0xbaee, v10
	v_add_f16_e32 v9, v97, v102
	v_add_f16_e32 v10, v11, v106
	;; [unrolled: 1-line block ×4, first 2 shown]
	v_sub_f16_e32 v14, v97, v102
	v_fmac_f16_e32 v8, -0.5, v9
	v_add_f16_e32 v9, v4, v103
	v_fma_f16 v4, -0.5, v11, v4
	v_sub_f16_e32 v11, v103, v98
	v_add_f16_e32 v12, v12, v92
	v_add_f16_e32 v13, v13, v102
	;; [unrolled: 1-line block ×3, first 2 shown]
	v_fmamk_f16 v16, v14, 0xbaee, v4
	v_fmamk_f16 v17, v11, 0x3aee, v8
	v_pack_b32_f16 v2, v3, v2
	v_pack_b32_f16 v3, v10, v12
	;; [unrolled: 1-line block ×5, first 2 shown]
	v_fmac_f16_e32 v4, 0x3aee, v14
	v_fmac_f16_e32 v8, 0xbaee, v11
	ds_write2_b32 v184, v3, v0 offset1:50
	ds_write_b32 v184, v2 offset:400
	ds_write2_b32 v189, v1, v9 offset1:50
	v_add_f16_e32 v0, v81, v109
	v_lshrrev_b32_e32 v2, 16, v5
	v_add_f16_e32 v3, v82, v83
	v_pack_b32_f16 v1, v4, v8
	v_add_f16_e32 v4, v5, v81
	v_fmac_f16_e32 v5, -0.5, v0
	v_sub_f16_e32 v0, v82, v83
	v_add_f16_e32 v8, v2, v82
	v_fmac_f16_e32 v2, -0.5, v3
	v_sub_f16_e32 v3, v81, v109
	ds_write_b32 v189, v1 offset:400
	v_fmamk_f16 v1, v0, 0xbaee, v5
	v_add_f16_e32 v4, v4, v109
	v_add_f16_e32 v8, v8, v83
	v_fmamk_f16 v9, v3, 0x3aee, v2
	v_lshrrev_b32_e32 v10, 16, v6
	v_fmac_f16_e32 v5, 0x3aee, v0
	v_fmac_f16_e32 v2, 0xbaee, v3
	v_pack_b32_f16 v0, v4, v8
	v_pack_b32_f16 v1, v1, v9
	v_add_f16_e32 v3, v10, v110
	v_add_f16_e32 v4, v110, v84
	;; [unrolled: 1-line block ×4, first 2 shown]
	v_sub_f16_e32 v11, v110, v84
	v_add_f16_e32 v3, v3, v84
	v_fmac_f16_e32 v10, -0.5, v4
	v_add_f16_e32 v4, v8, v108
	v_fma_f16 v6, -0.5, v9, v6
	v_sub_f16_e32 v8, v107, v108
	v_pack_b32_f16 v2, v5, v2
	ds_write2_b32 v182, v0, v1 offset1:50
	v_pack_b32_f16 v0, v4, v3
	v_fmamk_f16 v1, v11, 0xbaee, v6
	v_add_f16_e32 v4, v111, v86
	v_fmac_f16_e32 v6, 0x3aee, v11
	v_lshrrev_b32_e32 v5, 16, v7
	v_add_f16_e32 v11, v15, v71
	v_fmamk_f16 v3, v8, 0x3aee, v10
	v_add_f16_e32 v9, v7, v111
	v_fmac_f16_e32 v7, -0.5, v4
	v_sub_f16_e32 v4, v15, v71
	v_fmac_f16_e32 v10, 0xbaee, v8
	v_add_f16_e32 v8, v5, v15
	v_fmac_f16_e32 v5, -0.5, v11
	v_sub_f16_e32 v11, v111, v86
	v_fmamk_f16 v12, v4, 0xbaee, v7
	v_fmac_f16_e32 v7, 0x3aee, v4
	v_add_f16_e32 v4, v9, v86
	v_add_f16_e32 v8, v8, v71
	v_fmamk_f16 v9, v11, 0x3aee, v5
	v_fmac_f16_e32 v5, 0xbaee, v11
	v_pack_b32_f16 v1, v1, v3
	v_pack_b32_f16 v3, v6, v10
	v_pack_b32_f16 v4, v4, v8
	v_pack_b32_f16 v6, v12, v9
	v_pack_b32_f16 v5, v7, v5
	ds_write_b32 v182, v2 offset:400
	ds_write2_b32 v185, v0, v1 offset1:50
	ds_write_b32 v185, v3 offset:400
	ds_write2_b32 v192, v4, v6 offset1:50
	ds_write_b32 v192, v5 offset:400
	s_waitcnt lgkmcnt(0)
	s_barrier
	buffer_gl0_inv
	ds_read2_b32 v[0:1], v143 offset0:70 offset1:205
	ds_read2_b32 v[2:3], v156 offset0:12 offset1:147
	ds_read2_b32 v[4:5], v159 offset0:84 offset1:219
	s_waitcnt lgkmcnt(2)
	v_lshrrev_b32_e32 v8, 16, v0
	v_mul_f16_sdwa v6, v69, v0 dst_sel:DWORD dst_unused:UNUSED_PAD src0_sel:WORD_1 src1_sel:DWORD
	s_waitcnt lgkmcnt(1)
	v_lshrrev_b32_e32 v9, 16, v2
	v_lshrrev_b32_e32 v11, 16, v1
	v_mul_f16_sdwa v12, v70, v2 dst_sel:DWORD dst_unused:UNUSED_PAD src0_sel:WORD_1 src1_sel:DWORD
	v_mul_f16_sdwa v13, v69, v8 dst_sel:DWORD dst_unused:UNUSED_PAD src0_sel:WORD_1 src1_sel:DWORD
	v_fma_f16 v10, v69, v8, -v6
	ds_read2_b32 v[6:7], v137 offset0:26 offset1:161
	v_mul_f16_sdwa v14, v70, v9 dst_sel:DWORD dst_unused:UNUSED_PAD src0_sel:WORD_1 src1_sel:DWORD
	v_mul_f16_sdwa v15, v67, v11 dst_sel:DWORD dst_unused:UNUSED_PAD src0_sel:WORD_1 src1_sel:DWORD
	v_lshrrev_b32_e32 v8, 16, v3
	v_fmac_f16_e32 v13, v69, v0
	v_mul_f16_sdwa v0, v67, v1 dst_sel:DWORD dst_unused:UNUSED_PAD src0_sel:WORD_1 src1_sel:DWORD
	v_fmac_f16_e32 v14, v70, v2
	v_fmac_f16_e32 v15, v67, v1
	v_mul_f16_sdwa v16, v68, v8 dst_sel:DWORD dst_unused:UNUSED_PAD src0_sel:WORD_1 src1_sel:DWORD
	v_mul_f16_sdwa v2, v68, v3 dst_sel:DWORD dst_unused:UNUSED_PAD src0_sel:WORD_1 src1_sel:DWORD
	v_fma_f16 v11, v67, v11, -v0
	ds_read2_b32 v[0:1], v158 offset0:98 offset1:233
	v_fma_f16 v12, v70, v9, -v12
	s_waitcnt lgkmcnt(2)
	v_lshrrev_b32_e32 v9, 16, v4
	v_fmac_f16_e32 v16, v68, v3
	v_fma_f16 v18, v68, v8, -v2
	ds_read2_b32 v[2:3], v155 offset0:40 offset1:175
	v_lshrrev_b32_e32 v20, 16, v5
	v_mul_f16_sdwa v22, v63, v9 dst_sel:DWORD dst_unused:UNUSED_PAD src0_sel:WORD_1 src1_sel:DWORD
	v_mul_f16_sdwa v17, v63, v4 dst_sel:DWORD dst_unused:UNUSED_PAD src0_sel:WORD_1 src1_sel:DWORD
	s_waitcnt lgkmcnt(2)
	v_lshrrev_b32_e32 v8, 16, v6
	v_mul_f16_sdwa v19, v64, v6 dst_sel:DWORD dst_unused:UNUSED_PAD src0_sel:WORD_1 src1_sel:DWORD
	v_lshrrev_b32_e32 v21, 16, v7
	v_mul_f16_sdwa v25, v59, v20 dst_sel:DWORD dst_unused:UNUSED_PAD src0_sel:WORD_1 src1_sel:DWORD
	v_fmac_f16_e32 v22, v63, v4
	v_mul_f16_sdwa v23, v64, v8 dst_sel:DWORD dst_unused:UNUSED_PAD src0_sel:WORD_1 src1_sel:DWORD
	v_mul_f16_sdwa v4, v59, v5 dst_sel:DWORD dst_unused:UNUSED_PAD src0_sel:WORD_1 src1_sel:DWORD
	v_fma_f16 v17, v63, v9, -v17
	v_fma_f16 v19, v64, v8, -v19
	v_mul_f16_sdwa v26, v60, v21 dst_sel:DWORD dst_unused:UNUSED_PAD src0_sel:WORD_1 src1_sel:DWORD
	v_fmac_f16_e32 v23, v64, v6
	v_fmac_f16_e32 v25, v59, v5
	v_mul_f16_sdwa v6, v60, v7 dst_sel:DWORD dst_unused:UNUSED_PAD src0_sel:WORD_1 src1_sel:DWORD
	v_fma_f16 v20, v59, v20, -v4
	s_waitcnt lgkmcnt(1)
	v_lshrrev_b32_e32 v8, 16, v0
	v_mul_f16_sdwa v9, v57, v0 dst_sel:DWORD dst_unused:UNUSED_PAD src0_sel:WORD_1 src1_sel:DWORD
	ds_read2_b32 v[4:5], v140 offset0:112 offset1:247
	v_fmac_f16_e32 v26, v60, v7
	v_fma_f16 v21, v60, v21, -v6
	ds_read2_b32 v[6:7], v150 offset0:54 offset1:189
	s_waitcnt lgkmcnt(2)
	v_lshrrev_b32_e32 v59, 16, v2
	v_mul_f16_sdwa v60, v58, v2 dst_sel:DWORD dst_unused:UNUSED_PAD src0_sel:WORD_1 src1_sel:DWORD
	v_fma_f16 v63, v57, v8, -v9
	v_lshrrev_b32_e32 v9, 16, v1
	v_lshrrev_b32_e32 v64, 16, v3
	v_mul_f16_sdwa v67, v57, v8 dst_sel:DWORD dst_unused:UNUSED_PAD src0_sel:WORD_1 src1_sel:DWORD
	v_fma_f16 v60, v58, v59, -v60
	v_mul_f16_sdwa v59, v58, v59 dst_sel:DWORD dst_unused:UNUSED_PAD src0_sel:WORD_1 src1_sel:DWORD
	v_mul_f16_sdwa v68, v53, v9 dst_sel:DWORD dst_unused:UNUSED_PAD src0_sel:WORD_1 src1_sel:DWORD
	;; [unrolled: 1-line block ×3, first 2 shown]
	v_fmac_f16_e32 v67, v57, v0
	v_mul_f16_sdwa v0, v53, v1 dst_sel:DWORD dst_unused:UNUSED_PAD src0_sel:WORD_1 src1_sel:DWORD
	v_fmac_f16_e32 v59, v58, v2
	v_fmac_f16_e32 v68, v53, v1
	;; [unrolled: 1-line block ×3, first 2 shown]
	v_mul_f16_sdwa v8, v54, v3 dst_sel:DWORD dst_unused:UNUSED_PAD src0_sel:WORD_1 src1_sel:DWORD
	v_fma_f16 v53, v53, v9, -v0
	ds_read2_b32 v[0:1], v157 offset0:62 offset1:197
	ds_read2_b32 v[2:3], v134 offset0:68 offset1:203
	s_waitcnt lgkmcnt(3)
	v_lshrrev_b32_e32 v9, 16, v4
	v_mul_f16_sdwa v57, v39, v4 dst_sel:DWORD dst_unused:UNUSED_PAD src0_sel:WORD_1 src1_sel:DWORD
	s_waitcnt lgkmcnt(2)
	v_lshrrev_b32_e32 v58, 16, v6
	v_mul_f16_sdwa v70, v40, v6 dst_sel:DWORD dst_unused:UNUSED_PAD src0_sel:WORD_1 src1_sel:DWORD
	v_fma_f16 v54, v54, v64, -v8
	v_mul_f16_sdwa v64, v39, v9 dst_sel:DWORD dst_unused:UNUSED_PAD src0_sel:WORD_1 src1_sel:DWORD
	v_fma_f16 v57, v39, v9, -v57
	v_lshrrev_b32_e32 v71, 16, v5
	ds_read2_b32 v[8:9], v153 offset1:135
	v_fma_f16 v70, v40, v58, -v70
	v_mul_f16_sdwa v58, v40, v58 dst_sel:DWORD dst_unused:UNUSED_PAD src0_sel:WORD_1 src1_sel:DWORD
	v_fmac_f16_e32 v64, v39, v4
	v_mul_f16_sdwa v39, v41, v71 dst_sel:DWORD dst_unused:UNUSED_PAD src0_sel:WORD_1 src1_sel:DWORD
	v_mul_f16_sdwa v4, v41, v5 dst_sel:DWORD dst_unused:UNUSED_PAD src0_sel:WORD_1 src1_sel:DWORD
	v_lshrrev_b32_e32 v72, 16, v7
	v_mul_f16_sdwa v82, v42, v7 dst_sel:DWORD dst_unused:UNUSED_PAD src0_sel:WORD_1 src1_sel:DWORD
	v_fmac_f16_e32 v58, v40, v6
	v_fmac_f16_e32 v39, v41, v5
	v_fma_f16 v40, v41, v71, -v4
	s_waitcnt lgkmcnt(2)
	v_lshrrev_b32_e32 v4, 16, v0
	s_waitcnt lgkmcnt(1)
	v_lshrrev_b32_e32 v5, 16, v2
	v_mul_f16_sdwa v81, v42, v72 dst_sel:DWORD dst_unused:UNUSED_PAD src0_sel:WORD_1 src1_sel:DWORD
	v_fma_f16 v41, v42, v72, -v82
	v_mul_f16_sdwa v6, v43, v0 dst_sel:DWORD dst_unused:UNUSED_PAD src0_sel:WORD_1 src1_sel:DWORD
	v_mul_f16_sdwa v71, v43, v4 dst_sel:DWORD dst_unused:UNUSED_PAD src0_sel:WORD_1 src1_sel:DWORD
	;; [unrolled: 1-line block ×3, first 2 shown]
	v_fmac_f16_e32 v81, v42, v7
	v_lshrrev_b32_e32 v7, 16, v1
	v_mul_f16_sdwa v42, v44, v2 dst_sel:DWORD dst_unused:UNUSED_PAD src0_sel:WORD_1 src1_sel:DWORD
	v_fma_f16 v82, v43, v4, -v6
	v_fmac_f16_e32 v71, v43, v0
	v_fmac_f16_e32 v72, v44, v2
	s_waitcnt lgkmcnt(0)
	v_lshrrev_b32_e32 v43, 16, v8
	v_add_f16_e32 v2, v10, v12
	v_add_f16_e32 v4, v13, v14
	v_mul_f16_sdwa v83, v33, v7 dst_sel:DWORD dst_unused:UNUSED_PAD src0_sel:WORD_1 src1_sel:DWORD
	v_fma_f16 v42, v44, v5, -v42
	v_lshrrev_b32_e32 v0, 16, v3
	v_add_f16_e32 v5, v43, v10
	v_sub_f16_e32 v10, v10, v12
	v_fmac_f16_e32 v43, -0.5, v2
	v_add_f16_e32 v2, v8, v13
	v_fma_f16 v8, -0.5, v4, v8
	v_sub_f16_e32 v13, v13, v14
	v_fmac_f16_e32 v83, v33, v1
	v_mul_f16_sdwa v1, v33, v1 dst_sel:DWORD dst_unused:UNUSED_PAD src0_sel:WORD_1 src1_sel:DWORD
	v_mul_f16_sdwa v44, v34, v0 dst_sel:DWORD dst_unused:UNUSED_PAD src0_sel:WORD_1 src1_sel:DWORD
	;; [unrolled: 1-line block ×3, first 2 shown]
	v_add_f16_e32 v5, v5, v12
	v_add_f16_e32 v2, v2, v14
	v_fmamk_f16 v6, v10, 0xbaee, v8
	v_fmamk_f16 v12, v13, 0x3aee, v43
	v_fmac_f16_e32 v44, v34, v3
	v_fma_f16 v14, v33, v7, -v1
	v_fma_f16 v33, v34, v0, -v4
	v_pack_b32_f16 v34, v2, v5
	v_pack_b32_f16 v12, v6, v12
	ds_read2_b32 v[0:1], v162 offset0:14 offset1:149
	ds_read2_b32 v[2:3], v146 offset0:28 offset1:163
	ds_read2_b32 v[4:5], v161 offset0:42 offset1:177
	ds_read2_b32 v[6:7], v160 offset0:56 offset1:191
	v_add_f16_e32 v84, v15, v16
	v_lshrrev_b32_e32 v85, 16, v9
	v_add_f16_e32 v86, v11, v18
	v_fmac_f16_e32 v8, 0x3aee, v10
	v_fmac_f16_e32 v43, 0xbaee, v13
	s_waitcnt lgkmcnt(0)
	v_add_f16_e32 v91, v9, v15
	v_fmac_f16_e32 v9, -0.5, v84
	v_sub_f16_e32 v84, v11, v18
	v_add_f16_e32 v11, v85, v11
	v_fmac_f16_e32 v85, -0.5, v86
	v_sub_f16_e32 v15, v15, v16
	s_barrier
	buffer_gl0_inv
	ds_write2_b32 v153, v34, v12 offset1:150
	v_pack_b32_f16 v8, v8, v43
	v_lshrrev_b32_e32 v12, 16, v0
	v_fmamk_f16 v86, v84, 0xbaee, v9
	v_fmac_f16_e32 v9, 0x3aee, v84
	v_fmamk_f16 v84, v15, 0x3aee, v85
	v_fmac_f16_e32 v85, 0xbaee, v15
	v_add_f16_e32 v10, v91, v16
	v_add_f16_e32 v11, v11, v18
	ds_write_b32 v153, v8 offset:1200
	v_add_f16_e32 v8, v12, v17
	v_add_f16_e32 v13, v17, v19
	;; [unrolled: 1-line block ×3, first 2 shown]
	v_pack_b32_f16 v10, v10, v11
	v_pack_b32_f16 v11, v86, v84
	v_add_f16_e32 v16, v22, v23
	v_add_f16_e32 v8, v8, v19
	v_fmac_f16_e32 v12, -0.5, v13
	v_add_f16_e32 v13, v15, v23
	v_sub_f16_e32 v15, v22, v23
	v_pack_b32_f16 v9, v9, v85
	v_sub_f16_e32 v17, v17, v19
	v_fma_f16 v0, -0.5, v16, v0
	ds_write2_b32 v170, v10, v11 offset1:150
	ds_write_b32 v170, v9 offset:1200
	v_pack_b32_f16 v8, v13, v8
	v_fmamk_f16 v10, v15, 0x3aee, v12
	v_add_f16_e32 v11, v25, v26
	v_fmac_f16_e32 v12, 0xbaee, v15
	v_lshrrev_b32_e32 v13, 16, v1
	v_add_f16_e32 v15, v20, v21
	v_fmamk_f16 v9, v17, 0xbaee, v0
	v_fmac_f16_e32 v0, 0x3aee, v17
	v_add_f16_e32 v16, v1, v25
	v_fmac_f16_e32 v1, -0.5, v11
	v_sub_f16_e32 v11, v20, v21
	v_add_f16_e32 v17, v13, v20
	v_fmac_f16_e32 v13, -0.5, v15
	v_sub_f16_e32 v15, v25, v26
	v_pack_b32_f16 v9, v9, v10
	v_fmamk_f16 v10, v11, 0xbaee, v1
	v_fmac_f16_e32 v1, 0x3aee, v11
	v_pack_b32_f16 v0, v0, v12
	v_fmamk_f16 v11, v15, 0x3aee, v13
	v_fmac_f16_e32 v13, 0xbaee, v15
	v_add_f16_e32 v12, v16, v26
	v_add_f16_e32 v15, v17, v21
	ds_write2_b32 v171, v8, v9 offset1:150
	ds_write_b32 v171, v0 offset:1200
	v_add_f16_e32 v9, v63, v60
	v_pack_b32_f16 v0, v1, v13
	v_lshrrev_b32_e32 v1, 16, v2
	v_pack_b32_f16 v10, v10, v11
	v_add_f16_e32 v11, v67, v59
	v_pack_b32_f16 v8, v12, v15
	v_sub_f16_e32 v13, v63, v60
	v_add_f16_e32 v12, v1, v63
	v_fmac_f16_e32 v1, -0.5, v9
	v_add_f16_e32 v9, v2, v67
	v_fma_f16 v2, -0.5, v11, v2
	v_sub_f16_e32 v11, v67, v59
	ds_write2_b32 v168, v8, v10 offset1:150
	v_add_f16_e32 v8, v12, v60
	v_add_f16_e32 v9, v9, v59
	v_fmamk_f16 v10, v13, 0xbaee, v2
	v_fmamk_f16 v12, v11, 0x3aee, v1
	v_fmac_f16_e32 v2, 0x3aee, v13
	v_fmac_f16_e32 v1, 0xbaee, v11
	ds_write_b32 v168, v0 offset:1200
	v_pack_b32_f16 v0, v9, v8
	v_pack_b32_f16 v8, v10, v12
	v_add_f16_e32 v9, v68, v69
	v_pack_b32_f16 v1, v2, v1
	v_lshrrev_b32_e32 v2, 16, v3
	v_add_f16_e32 v10, v53, v54
	v_add_f16_e32 v11, v3, v68
	v_fmac_f16_e32 v3, -0.5, v9
	v_sub_f16_e32 v9, v53, v54
	v_add_f16_e32 v12, v2, v53
	v_fmac_f16_e32 v2, -0.5, v10
	v_sub_f16_e32 v10, v68, v69
	ds_write2_b32 v172, v0, v8 offset1:150
	ds_write_b32 v172, v1 offset:1200
	v_fmamk_f16 v0, v9, 0xbaee, v3
	v_fmac_f16_e32 v3, 0x3aee, v9
	v_lshrrev_b32_e32 v8, 16, v4
	v_fmamk_f16 v1, v10, 0x3aee, v2
	v_fmac_f16_e32 v2, 0xbaee, v10
	v_add_f16_e32 v9, v57, v70
	v_add_f16_e32 v10, v11, v69
	;; [unrolled: 1-line block ×4, first 2 shown]
	v_sub_f16_e32 v15, v57, v70
	v_fmac_f16_e32 v8, -0.5, v9
	v_add_f16_e32 v9, v4, v64
	v_fma_f16 v4, -0.5, v11, v4
	v_sub_f16_e32 v11, v64, v58
	v_add_f16_e32 v12, v12, v54
	v_add_f16_e32 v13, v13, v70
	;; [unrolled: 1-line block ×3, first 2 shown]
	v_fmamk_f16 v16, v15, 0xbaee, v4
	v_fmamk_f16 v17, v11, 0x3aee, v8
	v_pack_b32_f16 v2, v3, v2
	v_pack_b32_f16 v3, v10, v12
	v_pack_b32_f16 v0, v0, v1
	v_pack_b32_f16 v1, v9, v13
	v_pack_b32_f16 v9, v16, v17
	v_fmac_f16_e32 v4, 0x3aee, v15
	v_fmac_f16_e32 v8, 0xbaee, v11
	ds_write2_b32 v176, v3, v0 offset1:150
	ds_write_b32 v176, v2 offset:1200
	ds_write2_b32 v175, v1, v9 offset1:150
	v_lshrrev_b32_e32 v2, 16, v5
	v_add_f16_e32 v0, v39, v81
	v_add_f16_e32 v3, v40, v41
	v_pack_b32_f16 v1, v4, v8
	v_add_f16_e32 v4, v5, v39
	v_add_f16_e32 v8, v2, v40
	v_fmac_f16_e32 v5, -0.5, v0
	v_sub_f16_e32 v0, v40, v41
	v_fmac_f16_e32 v2, -0.5, v3
	v_sub_f16_e32 v3, v39, v81
	v_add_f16_e32 v4, v4, v81
	v_add_f16_e32 v8, v8, v41
	v_lshrrev_b32_e32 v10, 16, v6
	ds_write_b32 v175, v1 offset:1200
	v_fmamk_f16 v1, v0, 0xbaee, v5
	v_fmamk_f16 v9, v3, 0x3aee, v2
	v_fmac_f16_e32 v5, 0x3aee, v0
	v_fmac_f16_e32 v2, 0xbaee, v3
	v_pack_b32_f16 v0, v4, v8
	v_add_f16_e32 v3, v10, v82
	v_add_f16_e32 v4, v82, v42
	;; [unrolled: 1-line block ×3, first 2 shown]
	v_pack_b32_f16 v1, v1, v9
	v_add_f16_e32 v9, v71, v72
	v_add_f16_e32 v3, v3, v42
	v_fmac_f16_e32 v10, -0.5, v4
	v_add_f16_e32 v4, v8, v72
	v_sub_f16_e32 v11, v82, v42
	v_fma_f16 v6, -0.5, v9, v6
	v_pack_b32_f16 v2, v5, v2
	ds_write2_b32 v166, v0, v1 offset1:150
	v_pack_b32_f16 v0, v4, v3
	v_add_f16_e32 v4, v83, v44
	v_lshrrev_b32_e32 v5, 16, v7
	v_add_f16_e32 v9, v14, v33
	v_sub_f16_e32 v8, v71, v72
	v_fmamk_f16 v1, v11, 0xbaee, v6
	v_fmac_f16_e32 v6, 0x3aee, v11
	v_add_f16_e32 v11, v7, v83
	v_fmac_f16_e32 v7, -0.5, v4
	v_add_f16_e32 v4, v5, v14
	v_sub_f16_e32 v12, v14, v33
	v_fmac_f16_e32 v5, -0.5, v9
	v_sub_f16_e32 v9, v83, v44
	v_fmamk_f16 v3, v8, 0x3aee, v10
	v_fmac_f16_e32 v10, 0xbaee, v8
	v_add_f16_e32 v4, v4, v33
	v_add_f16_e32 v8, v11, v44
	v_fmamk_f16 v11, v12, 0xbaee, v7
	v_fmamk_f16 v13, v9, 0x3aee, v5
	v_fmac_f16_e32 v7, 0x3aee, v12
	v_fmac_f16_e32 v5, 0xbaee, v9
	v_pack_b32_f16 v1, v1, v3
	v_pack_b32_f16 v3, v6, v10
	v_pack_b32_f16 v4, v8, v4
	v_pack_b32_f16 v6, v11, v13
	v_pack_b32_f16 v5, v7, v5
	ds_write_b32 v166, v2 offset:1200
	ds_write2_b32 v169, v0, v1 offset1:150
	ds_write_b32 v169, v3 offset:1200
	ds_write2_b32 v174, v4, v6 offset0:16 offset1:166
	ds_write_b32 v173, v5 offset:15600
	s_waitcnt lgkmcnt(0)
	s_barrier
	buffer_gl0_inv
	ds_read2_b32 v[0:1], v143 offset0:70 offset1:205
	ds_read2_b32 v[2:3], v156 offset0:12 offset1:147
	;; [unrolled: 1-line block ×4, first 2 shown]
	s_waitcnt lgkmcnt(3)
	v_lshrrev_b32_e32 v8, 16, v0
	v_mul_f16_sdwa v9, v29, v0 dst_sel:DWORD dst_unused:UNUSED_PAD src0_sel:WORD_1 src1_sel:DWORD
	v_lshrrev_b32_e32 v12, 16, v1
	s_waitcnt lgkmcnt(2)
	v_lshrrev_b32_e32 v10, 16, v2
	v_mul_f16_sdwa v11, v30, v2 dst_sel:DWORD dst_unused:UNUSED_PAD src0_sel:WORD_1 src1_sel:DWORD
	v_lshrrev_b32_e32 v13, 16, v3
	v_fma_f16 v9, v29, v8, -v9
	v_mul_f16_sdwa v8, v29, v8 dst_sel:DWORD dst_unused:UNUSED_PAD src0_sel:WORD_1 src1_sel:DWORD
	v_mul_f16_sdwa v14, v27, v12 dst_sel:DWORD dst_unused:UNUSED_PAD src0_sel:WORD_1 src1_sel:DWORD
	v_fma_f16 v11, v30, v10, -v11
	v_mul_f16_sdwa v10, v30, v10 dst_sel:DWORD dst_unused:UNUSED_PAD src0_sel:WORD_1 src1_sel:DWORD
	v_mul_f16_sdwa v15, v28, v13 dst_sel:DWORD dst_unused:UNUSED_PAD src0_sel:WORD_1 src1_sel:DWORD
	v_fmac_f16_e32 v8, v29, v0
	v_mul_f16_sdwa v0, v27, v1 dst_sel:DWORD dst_unused:UNUSED_PAD src0_sel:WORD_1 src1_sel:DWORD
	v_mul_f16_sdwa v16, v28, v3 dst_sel:DWORD dst_unused:UNUSED_PAD src0_sel:WORD_1 src1_sel:DWORD
	v_fmac_f16_e32 v14, v27, v1
	v_fmac_f16_e32 v10, v30, v2
	;; [unrolled: 1-line block ×3, first 2 shown]
	v_fma_f16 v12, v27, v12, -v0
	ds_read2_b32 v[0:1], v158 offset0:98 offset1:233
	v_fma_f16 v13, v28, v13, -v16
	s_waitcnt lgkmcnt(2)
	v_lshrrev_b32_e32 v16, 16, v4
	v_mul_f16_sdwa v17, v61, v4 dst_sel:DWORD dst_unused:UNUSED_PAD src0_sel:WORD_1 src1_sel:DWORD
	ds_read2_b32 v[2:3], v155 offset0:40 offset1:175
	s_waitcnt lgkmcnt(2)
	v_lshrrev_b32_e32 v18, 16, v6
	v_mul_f16_sdwa v19, v62, v6 dst_sel:DWORD dst_unused:UNUSED_PAD src0_sel:WORD_1 src1_sel:DWORD
	v_lshrrev_b32_e32 v20, 16, v5
	v_fma_f16 v17, v61, v16, -v17
	v_mul_f16_sdwa v16, v61, v16 dst_sel:DWORD dst_unused:UNUSED_PAD src0_sel:WORD_1 src1_sel:DWORD
	v_lshrrev_b32_e32 v21, 16, v7
	v_fma_f16 v19, v62, v18, -v19
	v_mul_f16_sdwa v18, v62, v18 dst_sel:DWORD dst_unused:UNUSED_PAD src0_sel:WORD_1 src1_sel:DWORD
	v_mul_f16_sdwa v22, v65, v20 dst_sel:DWORD dst_unused:UNUSED_PAD src0_sel:WORD_1 src1_sel:DWORD
	v_fmac_f16_e32 v16, v61, v4
	v_mul_f16_sdwa v23, v66, v21 dst_sel:DWORD dst_unused:UNUSED_PAD src0_sel:WORD_1 src1_sel:DWORD
	v_mul_f16_sdwa v4, v65, v5 dst_sel:DWORD dst_unused:UNUSED_PAD src0_sel:WORD_1 src1_sel:DWORD
	;; [unrolled: 1-line block ×3, first 2 shown]
	v_fmac_f16_e32 v18, v62, v6
	v_fmac_f16_e32 v22, v65, v5
	;; [unrolled: 1-line block ×3, first 2 shown]
	v_fma_f16 v20, v65, v20, -v4
	v_fma_f16 v21, v66, v21, -v25
	s_waitcnt lgkmcnt(1)
	v_lshrrev_b32_e32 v25, 16, v0
	v_mul_f16_sdwa v26, v55, v0 dst_sel:DWORD dst_unused:UNUSED_PAD src0_sel:WORD_1 src1_sel:DWORD
	ds_read2_b32 v[4:5], v140 offset0:112 offset1:247
	ds_read2_b32 v[6:7], v150 offset0:54 offset1:189
	s_waitcnt lgkmcnt(2)
	v_lshrrev_b32_e32 v27, 16, v2
	v_mul_f16_sdwa v28, v56, v2 dst_sel:DWORD dst_unused:UNUSED_PAD src0_sel:WORD_1 src1_sel:DWORD
	v_fma_f16 v26, v55, v25, -v26
	v_mul_f16_sdwa v25, v55, v25 dst_sel:DWORD dst_unused:UNUSED_PAD src0_sel:WORD_1 src1_sel:DWORD
	v_lshrrev_b32_e32 v29, 16, v1
	v_lshrrev_b32_e32 v30, 16, v3
	v_fma_f16 v28, v56, v27, -v28
	v_mul_f16_sdwa v27, v56, v27 dst_sel:DWORD dst_unused:UNUSED_PAD src0_sel:WORD_1 src1_sel:DWORD
	v_fmac_f16_e32 v25, v55, v0
	v_mul_f16_sdwa v33, v47, v29 dst_sel:DWORD dst_unused:UNUSED_PAD src0_sel:WORD_1 src1_sel:DWORD
	v_mul_f16_sdwa v0, v47, v1 dst_sel:DWORD dst_unused:UNUSED_PAD src0_sel:WORD_1 src1_sel:DWORD
	;; [unrolled: 1-line block ×3, first 2 shown]
	v_fmac_f16_e32 v27, v56, v2
	v_mul_f16_sdwa v2, v48, v3 dst_sel:DWORD dst_unused:UNUSED_PAD src0_sel:WORD_1 src1_sel:DWORD
	v_fmac_f16_e32 v33, v47, v1
	v_fma_f16 v29, v47, v29, -v0
	ds_read2_b32 v[0:1], v157 offset0:62 offset1:197
	v_fmac_f16_e32 v34, v48, v3
	v_fma_f16 v30, v48, v30, -v2
	s_waitcnt lgkmcnt(2)
	v_lshrrev_b32_e32 v39, 16, v4
	v_mul_f16_sdwa v40, v51, v4 dst_sel:DWORD dst_unused:UNUSED_PAD src0_sel:WORD_1 src1_sel:DWORD
	s_waitcnt lgkmcnt(1)
	v_lshrrev_b32_e32 v41, 16, v6
	v_mul_f16_sdwa v42, v52, v6 dst_sel:DWORD dst_unused:UNUSED_PAD src0_sel:WORD_1 src1_sel:DWORD
	v_lshrrev_b32_e32 v43, 16, v5
	ds_read2_b32 v[2:3], v134 offset0:68 offset1:203
	v_fma_f16 v40, v51, v39, -v40
	v_mul_f16_sdwa v39, v51, v39 dst_sel:DWORD dst_unused:UNUSED_PAD src0_sel:WORD_1 src1_sel:DWORD
	v_mul_f16_sdwa v44, v52, v41 dst_sel:DWORD dst_unused:UNUSED_PAD src0_sel:WORD_1 src1_sel:DWORD
	;; [unrolled: 1-line block ×3, first 2 shown]
	v_fma_f16 v41, v52, v41, -v42
	v_lshrrev_b32_e32 v42, 16, v7
	v_fmac_f16_e32 v39, v51, v4
	v_fmac_f16_e32 v44, v52, v6
	;; [unrolled: 1-line block ×3, first 2 shown]
	v_mul_f16_sdwa v6, v37, v5 dst_sel:DWORD dst_unused:UNUSED_PAD src0_sel:WORD_1 src1_sel:DWORD
	v_mul_f16_sdwa v48, v38, v42 dst_sel:DWORD dst_unused:UNUSED_PAD src0_sel:WORD_1 src1_sel:DWORD
	ds_read2_b32 v[4:5], v153 offset1:135
	v_mul_f16_sdwa v51, v38, v7 dst_sel:DWORD dst_unused:UNUSED_PAD src0_sel:WORD_1 src1_sel:DWORD
	s_waitcnt lgkmcnt(2)
	v_lshrrev_b32_e32 v52, 16, v0
	v_mul_f16_sdwa v53, v35, v0 dst_sel:DWORD dst_unused:UNUSED_PAD src0_sel:WORD_1 src1_sel:DWORD
	v_fmac_f16_e32 v48, v38, v7
	v_lshrrev_b32_e32 v7, 16, v1
	v_fma_f16 v37, v37, v43, -v6
	v_fma_f16 v38, v38, v42, -v51
	v_fma_f16 v42, v35, v52, -v53
	s_waitcnt lgkmcnt(1)
	v_lshrrev_b32_e32 v6, 16, v2
	v_lshrrev_b32_e32 v51, 16, v3
	v_mul_f16_sdwa v52, v35, v52 dst_sel:DWORD dst_unused:UNUSED_PAD src0_sel:WORD_1 src1_sel:DWORD
	v_mul_f16_sdwa v54, v31, v7 dst_sel:DWORD dst_unused:UNUSED_PAD src0_sel:WORD_1 src1_sel:DWORD
	;; [unrolled: 1-line block ×5, first 2 shown]
	v_fmac_f16_e32 v52, v35, v0
	v_fmac_f16_e32 v54, v31, v1
	v_mul_f16_sdwa v0, v31, v1 dst_sel:DWORD dst_unused:UNUSED_PAD src0_sel:WORD_1 src1_sel:DWORD
	v_add_f16_e32 v1, v8, v10
	v_fma_f16 v43, v36, v6, -v43
	v_fmac_f16_e32 v53, v36, v2
	v_fmac_f16_e32 v55, v32, v3
	v_mul_f16_sdwa v2, v32, v3 dst_sel:DWORD dst_unused:UNUSED_PAD src0_sel:WORD_1 src1_sel:DWORD
	s_waitcnt lgkmcnt(0)
	v_lshrrev_b32_e32 v3, 16, v4
	v_fma_f16 v31, v31, v7, -v0
	v_add_f16_e32 v0, v9, v11
	v_add_f16_e32 v6, v4, v8
	v_fma_f16 v4, -0.5, v1, v4
	v_sub_f16_e32 v1, v9, v11
	v_add_f16_e32 v7, v3, v9
	v_fmac_f16_e32 v3, -0.5, v0
	v_sub_f16_e32 v0, v8, v10
	v_add_f16_e32 v6, v6, v10
	v_fmamk_f16 v8, v1, 0xbaee, v4
	v_fmac_f16_e32 v4, 0x3aee, v1
	v_add_f16_e32 v1, v5, v14
	v_add_f16_e32 v7, v7, v11
	v_fmamk_f16 v10, v0, 0x3aee, v3
	v_fmac_f16_e32 v3, 0xbaee, v0
	v_lshrrev_b32_e32 v35, 16, v5
	v_add_f16_e32 v11, v1, v15
	ds_read2_b32 v[0:1], v162 offset0:14 offset1:149
	v_fma_f16 v32, v32, v51, -v2
	v_pack_b32_f16 v10, v8, v10
	v_add_f16_e32 v9, v35, v12
	v_pack_b32_f16 v4, v4, v3
	v_add_f16_e32 v51, v14, v15
	v_add_f16_e32 v56, v12, v13
	v_pack_b32_f16 v36, v6, v7
	v_add_f16_e32 v9, v9, v13
	v_fmac_f16_e32 v5, -0.5, v51
	v_fmac_f16_e32 v35, -0.5, v56
	v_add_f16_e32 v51, v16, v18
	v_pack_b32_f16 v11, v11, v9
	ds_read2_b32 v[2:3], v146 offset0:28 offset1:163
	ds_read2_b32 v[6:7], v161 offset0:42 offset1:177
	;; [unrolled: 1-line block ×3, first 2 shown]
	s_waitcnt lgkmcnt(0)
	s_barrier
	buffer_gl0_inv
	ds_write_b32 v153, v10 offset:1800
	v_sub_f16_e32 v10, v12, v13
	v_sub_f16_e32 v12, v14, v15
	ds_write_b32 v153, v4 offset:3600
	v_lshrrev_b32_e32 v4, 16, v0
	v_add_f16_e32 v14, v17, v19
	v_fmamk_f16 v13, v10, 0xbaee, v5
	v_fmac_f16_e32 v5, 0x3aee, v10
	v_fmamk_f16 v10, v12, 0x3aee, v35
	v_fmac_f16_e32 v35, 0xbaee, v12
	v_add_f16_e32 v12, v4, v17
	v_add_f16_e32 v15, v0, v16
	v_sub_f16_e32 v17, v17, v19
	v_fmac_f16_e32 v4, -0.5, v14
	v_fma_f16 v0, -0.5, v51, v0
	v_add_f16_e32 v12, v12, v19
	v_add_f16_e32 v14, v15, v18
	v_sub_f16_e32 v15, v16, v18
	v_pack_b32_f16 v10, v13, v10
	v_fmamk_f16 v13, v17, 0xbaee, v0
	v_fmac_f16_e32 v0, 0x3aee, v17
	v_pack_b32_f16 v12, v14, v12
	v_fmamk_f16 v14, v15, 0x3aee, v4
	v_add_f16_e32 v16, v22, v23
	v_fmac_f16_e32 v4, 0xbaee, v15
	v_lshrrev_b32_e32 v15, 16, v1
	v_add_f16_e32 v17, v20, v21
	v_add_f16_e32 v18, v1, v22
	v_fmac_f16_e32 v1, -0.5, v16
	v_sub_f16_e32 v16, v20, v21
	v_add_f16_e32 v19, v15, v20
	v_fmac_f16_e32 v15, -0.5, v17
	v_sub_f16_e32 v17, v22, v23
	v_pack_b32_f16 v13, v13, v14
	v_pack_b32_f16 v0, v0, v4
	v_fmamk_f16 v4, v16, 0xbaee, v1
	v_fmac_f16_e32 v1, 0x3aee, v16
	v_fmamk_f16 v14, v17, 0x3aee, v15
	v_fmac_f16_e32 v15, 0xbaee, v17
	v_pack_b32_f16 v5, v5, v35
	ds_write2_b32 v153, v36, v11 offset1:135
	ds_write_b32 v153, v12 offset:1080
	ds_write2_b32 v146, v10, v13 offset0:73 offset1:208
	ds_write2_b32 v160, v5, v0 offset0:11 offset1:146
	v_add_f16_e32 v5, v18, v23
	v_pack_b32_f16 v0, v1, v15
	v_add_f16_e32 v1, v25, v27
	v_add_f16_e32 v12, v19, v21
	v_sub_f16_e32 v13, v26, v28
	v_lshrrev_b32_e32 v10, 16, v2
	v_add_f16_e32 v11, v26, v28
	v_fma_f16 v1, -0.5, v1, v2
	v_pack_b32_f16 v5, v5, v12
	v_lshrrev_b32_e32 v17, 16, v3
	v_add_f16_e32 v18, v29, v30
	v_add_f16_e32 v15, v10, v26
	v_fmamk_f16 v12, v13, 0xbaee, v1
	v_fmac_f16_e32 v1, 0x3aee, v13
	v_add_f16_e32 v13, v33, v34
	v_fmac_f16_e32 v10, -0.5, v11
	v_sub_f16_e32 v11, v25, v27
	v_add_f16_e32 v19, v3, v33
	v_add_f16_e32 v20, v17, v29
	v_fmac_f16_e32 v3, -0.5, v13
	v_sub_f16_e32 v13, v29, v30
	v_fmac_f16_e32 v17, -0.5, v18
	v_sub_f16_e32 v18, v33, v34
	v_add_f16_e32 v2, v2, v25
	v_fmamk_f16 v16, v11, 0x3aee, v10
	v_fmac_f16_e32 v10, 0xbaee, v11
	v_fmamk_f16 v11, v13, 0xbaee, v3
	v_fmac_f16_e32 v3, 0x3aee, v13
	;; [unrolled: 2-line block ×3, first 2 shown]
	v_add_f16_e32 v2, v2, v27
	v_add_f16_e32 v15, v15, v28
	;; [unrolled: 1-line block ×4, first 2 shown]
	v_pack_b32_f16 v4, v4, v14
	v_pack_b32_f16 v1, v1, v10
	;; [unrolled: 1-line block ×5, first 2 shown]
	ds_write_b32 v167, v5
	ds_write_b32 v167, v4 offset:1800
	ds_write_b32 v167, v0 offset:3600
	ds_write2_b32 v177, v1, v3 offset0:36 offset1:171
	ds_write2_b32 v165, v2, v10 offset0:32 offset1:167
	v_lshrrev_b32_e32 v3, 16, v6
	v_add_f16_e32 v1, v39, v44
	v_add_f16_e32 v4, v40, v41
	;; [unrolled: 1-line block ×3, first 2 shown]
	v_pack_b32_f16 v0, v12, v16
	v_add_f16_e32 v10, v3, v40
	v_fma_f16 v1, -0.5, v1, v6
	v_sub_f16_e32 v6, v40, v41
	v_fmac_f16_e32 v3, -0.5, v4
	v_sub_f16_e32 v4, v39, v44
	v_add_f16_e32 v5, v5, v44
	v_add_f16_e32 v10, v10, v41
	v_pack_b32_f16 v2, v11, v13
	v_fmamk_f16 v11, v6, 0xbaee, v1
	v_fmac_f16_e32 v1, 0x3aee, v6
	v_fmamk_f16 v6, v4, 0x3aee, v3
	v_fmac_f16_e32 v3, 0xbaee, v4
	v_add_f16_e32 v4, v47, v48
	v_pack_b32_f16 v5, v5, v10
	v_lshrrev_b32_e32 v10, 16, v7
	v_add_f16_e32 v12, v37, v38
	v_add_f16_e32 v13, v7, v47
	v_fmac_f16_e32 v7, -0.5, v4
	v_sub_f16_e32 v4, v37, v38
	v_add_f16_e32 v14, v10, v37
	v_fmac_f16_e32 v10, -0.5, v12
	v_sub_f16_e32 v12, v47, v48
	v_pack_b32_f16 v6, v11, v6
	v_pack_b32_f16 v1, v1, v3
	v_fmamk_f16 v3, v4, 0xbaee, v7
	v_fmac_f16_e32 v7, 0x3aee, v4
	v_fmamk_f16 v4, v12, 0x3aee, v10
	v_fmac_f16_e32 v10, 0xbaee, v12
	ds_write2_b32 v158, v0, v2 offset0:98 offset1:233
	ds_write_b32 v181, v5
	ds_write_b32 v181, v6 offset:1800
	ds_write_b32 v181, v1 offset:3600
	v_add_f16_e32 v5, v52, v53
	v_lshrrev_b32_e32 v2, 16, v8
	v_add_f16_e32 v12, v54, v55
	v_pack_b32_f16 v0, v7, v10
	v_add_f16_e32 v10, v8, v52
	v_fma_f16 v5, -0.5, v5, v8
	v_sub_f16_e32 v8, v42, v43
	v_add_f16_e32 v7, v42, v43
	v_add_f16_e32 v1, v13, v48
	;; [unrolled: 1-line block ×4, first 2 shown]
	v_fmamk_f16 v13, v8, 0xbaee, v5
	v_fmac_f16_e32 v5, 0x3aee, v8
	v_lshrrev_b32_e32 v8, 16, v9
	v_fmac_f16_e32 v2, -0.5, v7
	v_add_f16_e32 v7, v10, v53
	v_sub_f16_e32 v10, v52, v53
	v_add_f16_e32 v14, v9, v54
	v_fmac_f16_e32 v9, -0.5, v12
	v_sub_f16_e32 v12, v31, v32
	v_add_f16_e32 v16, v31, v32
	v_add_f16_e32 v17, v8, v31
	;; [unrolled: 1-line block ×3, first 2 shown]
	v_fmamk_f16 v15, v10, 0x3aee, v2
	v_fmac_f16_e32 v2, 0xbaee, v10
	v_fmamk_f16 v10, v12, 0xbaee, v9
	v_fmac_f16_e32 v9, 0x3aee, v12
	v_fmac_f16_e32 v8, -0.5, v16
	v_add_f16_e32 v12, v14, v55
	v_sub_f16_e32 v14, v54, v55
	v_pack_b32_f16 v1, v1, v6
	v_pack_b32_f16 v3, v3, v4
	v_add_f16_e32 v16, v17, v32
	v_pack_b32_f16 v4, v7, v11
	v_fmamk_f16 v6, v14, 0x3aee, v8
	v_fmac_f16_e32 v8, 0xbaee, v14
	ds_write_b32 v180, v1 offset:10800
	ds_write_b32 v180, v3 offset:12600
	;; [unrolled: 1-line block ×4, first 2 shown]
	v_pack_b32_f16 v0, v13, v15
	v_pack_b32_f16 v1, v5, v2
	;; [unrolled: 1-line block ×5, first 2 shown]
	ds_write_b32 v179, v0 offset:12600
	ds_write_b32 v179, v1 offset:14400
	;; [unrolled: 1-line block ×5, first 2 shown]
	s_waitcnt lgkmcnt(0)
	s_barrier
	buffer_gl0_inv
	ds_read2_b32 v[0:1], v143 offset0:70 offset1:205
	ds_read2_b32 v[2:3], v156 offset0:12 offset1:147
	;; [unrolled: 1-line block ×4, first 2 shown]
	s_waitcnt lgkmcnt(3)
	v_lshrrev_b32_e32 v8, 16, v0
	s_waitcnt lgkmcnt(2)
	v_lshrrev_b32_e32 v9, 16, v2
	v_lshrrev_b32_e32 v10, 16, v1
	;; [unrolled: 1-line block ×3, first 2 shown]
	v_mul_f16_sdwa v13, v49, v0 dst_sel:DWORD dst_unused:UNUSED_PAD src0_sel:WORD_1 src1_sel:DWORD
	v_mul_f16_sdwa v17, v50, v2 dst_sel:DWORD dst_unused:UNUSED_PAD src0_sel:WORD_1 src1_sel:DWORD
	;; [unrolled: 1-line block ×3, first 2 shown]
	s_waitcnt lgkmcnt(1)
	v_lshrrev_b32_e32 v12, 16, v4
	v_mul_f16_sdwa v15, v49, v8 dst_sel:DWORD dst_unused:UNUSED_PAD src0_sel:WORD_1 src1_sel:DWORD
	v_fma_f16 v8, v49, v8, -v13
	v_mul_f16_sdwa v13, v45, v10 dst_sel:DWORD dst_unused:UNUSED_PAD src0_sel:WORD_1 src1_sel:DWORD
	v_fmac_f16_e32 v16, v50, v2
	v_fma_f16 v9, v50, v9, -v17
	v_mul_f16_sdwa v2, v45, v1 dst_sel:DWORD dst_unused:UNUSED_PAD src0_sel:WORD_1 src1_sel:DWORD
	v_mul_f16_sdwa v17, v46, v11 dst_sel:DWORD dst_unused:UNUSED_PAD src0_sel:WORD_1 src1_sel:DWORD
	;; [unrolled: 1-line block ×3, first 2 shown]
	s_waitcnt lgkmcnt(0)
	v_lshrrev_b32_e32 v14, 16, v6
	v_fmac_f16_e32 v15, v49, v0
	v_fmac_f16_e32 v13, v45, v1
	ds_read2_b32 v[0:1], v158 offset0:98 offset1:233
	v_fma_f16 v10, v45, v10, -v2
	v_mul_f16_sdwa v19, v75, v4 dst_sel:DWORD dst_unused:UNUSED_PAD src0_sel:WORD_1 src1_sel:DWORD
	v_fmac_f16_e32 v17, v46, v3
	ds_read2_b32 v[2:3], v155 offset0:40 offset1:175
	v_fma_f16 v11, v46, v11, -v18
	v_mul_f16_sdwa v18, v75, v12 dst_sel:DWORD dst_unused:UNUSED_PAD src0_sel:WORD_1 src1_sel:DWORD
	v_lshrrev_b32_e32 v20, 16, v5
	v_fma_f16 v12, v75, v12, -v19
	v_mul_f16_sdwa v19, v76, v14 dst_sel:DWORD dst_unused:UNUSED_PAD src0_sel:WORD_1 src1_sel:DWORD
	v_mul_f16_sdwa v21, v76, v6 dst_sel:DWORD dst_unused:UNUSED_PAD src0_sel:WORD_1 src1_sel:DWORD
	v_fmac_f16_e32 v18, v75, v4
	v_mul_f16_sdwa v22, v73, v20 dst_sel:DWORD dst_unused:UNUSED_PAD src0_sel:WORD_1 src1_sel:DWORD
	v_lshrrev_b32_e32 v23, 16, v7
	v_mul_f16_sdwa v4, v73, v5 dst_sel:DWORD dst_unused:UNUSED_PAD src0_sel:WORD_1 src1_sel:DWORD
	v_fmac_f16_e32 v19, v76, v6
	v_fma_f16 v14, v76, v14, -v21
	v_fmac_f16_e32 v22, v73, v5
	v_mul_f16_sdwa v21, v74, v23 dst_sel:DWORD dst_unused:UNUSED_PAD src0_sel:WORD_1 src1_sel:DWORD
	v_fma_f16 v20, v73, v20, -v4
	v_mul_f16_sdwa v6, v74, v7 dst_sel:DWORD dst_unused:UNUSED_PAD src0_sel:WORD_1 src1_sel:DWORD
	ds_read2_b32 v[4:5], v140 offset0:112 offset1:247
	s_waitcnt lgkmcnt(2)
	v_lshrrev_b32_e32 v25, 16, v0
	v_fmac_f16_e32 v21, v74, v7
	v_mul_f16_sdwa v26, v77, v0 dst_sel:DWORD dst_unused:UNUSED_PAD src0_sel:WORD_1 src1_sel:DWORD
	v_fma_f16 v23, v74, v23, -v6
	ds_read2_b32 v[6:7], v150 offset0:54 offset1:189
	s_waitcnt lgkmcnt(2)
	v_lshrrev_b32_e32 v27, 16, v2
	v_lshrrev_b32_e32 v29, 16, v1
	v_mul_f16_sdwa v28, v78, v2 dst_sel:DWORD dst_unused:UNUSED_PAD src0_sel:WORD_1 src1_sel:DWORD
	v_mul_f16_sdwa v30, v77, v25 dst_sel:DWORD dst_unused:UNUSED_PAD src0_sel:WORD_1 src1_sel:DWORD
	v_fma_f16 v25, v77, v25, -v26
	v_mul_f16_sdwa v26, v78, v27 dst_sel:DWORD dst_unused:UNUSED_PAD src0_sel:WORD_1 src1_sel:DWORD
	v_lshrrev_b32_e32 v31, 16, v3
	v_mul_f16_sdwa v32, v79, v29 dst_sel:DWORD dst_unused:UNUSED_PAD src0_sel:WORD_1 src1_sel:DWORD
	v_fma_f16 v27, v78, v27, -v28
	v_fmac_f16_e32 v30, v77, v0
	v_fmac_f16_e32 v26, v78, v2
	v_mul_f16_sdwa v28, v80, v31 dst_sel:DWORD dst_unused:UNUSED_PAD src0_sel:WORD_1 src1_sel:DWORD
	v_fmac_f16_e32 v32, v79, v1
	v_mul_f16_sdwa v2, v79, v1 dst_sel:DWORD dst_unused:UNUSED_PAD src0_sel:WORD_1 src1_sel:DWORD
	v_mul_f16_sdwa v33, v80, v3 dst_sel:DWORD dst_unused:UNUSED_PAD src0_sel:WORD_1 src1_sel:DWORD
	s_waitcnt lgkmcnt(1)
	v_lshrrev_b32_e32 v34, 16, v4
	v_mul_f16_sdwa v35, v87, v4 dst_sel:DWORD dst_unused:UNUSED_PAD src0_sel:WORD_1 src1_sel:DWORD
	ds_read2_b32 v[0:1], v157 offset0:62 offset1:197
	v_fmac_f16_e32 v28, v80, v3
	v_fma_f16 v29, v79, v29, -v2
	v_fma_f16 v31, v80, v31, -v33
	;; [unrolled: 1-line block ×3, first 2 shown]
	s_waitcnt lgkmcnt(1)
	v_lshrrev_b32_e32 v35, 16, v6
	ds_read2_b32 v[2:3], v134 offset0:68 offset1:203
	v_lshrrev_b32_e32 v36, 16, v5
	v_mul_f16_sdwa v34, v87, v34 dst_sel:DWORD dst_unused:UNUSED_PAD src0_sel:WORD_1 src1_sel:DWORD
	v_mul_f16_sdwa v37, v88, v6 dst_sel:DWORD dst_unused:UNUSED_PAD src0_sel:WORD_1 src1_sel:DWORD
	;; [unrolled: 1-line block ×3, first 2 shown]
	v_lshrrev_b32_e32 v38, 16, v7
	v_mul_f16_sdwa v40, v89, v36 dst_sel:DWORD dst_unused:UNUSED_PAD src0_sel:WORD_1 src1_sel:DWORD
	v_fmac_f16_e32 v34, v87, v4
	v_fma_f16 v35, v88, v35, -v37
	v_fmac_f16_e32 v39, v88, v6
	v_mul_f16_sdwa v6, v89, v5 dst_sel:DWORD dst_unused:UNUSED_PAD src0_sel:WORD_1 src1_sel:DWORD
	v_fmac_f16_e32 v40, v89, v5
	ds_read2_b32 v[4:5], v153 offset1:135
	v_mul_f16_sdwa v37, v90, v38 dst_sel:DWORD dst_unused:UNUSED_PAD src0_sel:WORD_1 src1_sel:DWORD
	s_waitcnt lgkmcnt(2)
	v_lshrrev_b32_e32 v41, 16, v0
	v_mul_f16_sdwa v42, v93, v0 dst_sel:DWORD dst_unused:UNUSED_PAD src0_sel:WORD_1 src1_sel:DWORD
	v_lshrrev_b32_e32 v43, 16, v1
	v_fma_f16 v36, v89, v36, -v6
	v_fmac_f16_e32 v37, v90, v7
	v_mul_f16_sdwa v7, v90, v7 dst_sel:DWORD dst_unused:UNUSED_PAD src0_sel:WORD_1 src1_sel:DWORD
	s_waitcnt lgkmcnt(1)
	v_lshrrev_b32_e32 v6, 16, v2
	v_fma_f16 v42, v93, v41, -v42
	v_mul_f16_sdwa v41, v93, v41 dst_sel:DWORD dst_unused:UNUSED_PAD src0_sel:WORD_1 src1_sel:DWORD
	v_mul_f16_sdwa v47, v95, v43 dst_sel:DWORD dst_unused:UNUSED_PAD src0_sel:WORD_1 src1_sel:DWORD
	v_lshrrev_b32_e32 v44, 16, v3
	v_mul_f16_sdwa v46, v94, v6 dst_sel:DWORD dst_unused:UNUSED_PAD src0_sel:WORD_1 src1_sel:DWORD
	v_fma_f16 v38, v90, v38, -v7
	v_fmac_f16_e32 v41, v93, v0
	v_mul_f16_sdwa v0, v95, v1 dst_sel:DWORD dst_unused:UNUSED_PAD src0_sel:WORD_1 src1_sel:DWORD
	v_fmac_f16_e32 v47, v95, v1
	v_mul_f16_sdwa v1, v96, v3 dst_sel:DWORD dst_unused:UNUSED_PAD src0_sel:WORD_1 src1_sel:DWORD
	v_mul_f16_sdwa v7, v94, v2 dst_sel:DWORD dst_unused:UNUSED_PAD src0_sel:WORD_1 src1_sel:DWORD
	;; [unrolled: 1-line block ×3, first 2 shown]
	v_fmac_f16_e32 v46, v94, v2
	v_fma_f16 v43, v95, v43, -v0
	s_waitcnt lgkmcnt(0)
	v_lshrrev_b32_e32 v2, 16, v4
	v_add_f16_e32 v0, v15, v16
	v_fma_f16 v44, v96, v44, -v1
	v_add_f16_e32 v1, v8, v9
	v_fma_f16 v45, v94, v6, -v7
	v_fmac_f16_e32 v48, v96, v3
	v_add_f16_e32 v3, v4, v15
	v_add_f16_e32 v6, v2, v8
	v_fma_f16 v4, -0.5, v0, v4
	v_fmac_f16_e32 v2, -0.5, v1
	ds_read2_b32 v[0:1], v162 offset0:14 offset1:149
	v_sub_f16_e32 v7, v8, v9
	v_sub_f16_e32 v8, v15, v16
	v_lshrrev_b32_e32 v15, 16, v5
	v_add_f16_e32 v50, v13, v17
	v_add_f16_e32 v3, v3, v16
	v_fmamk_f16 v16, v7, 0xbaee, v4
	v_fmac_f16_e32 v4, 0x3aee, v7
	v_add_f16_e32 v49, v15, v10
	v_add_f16_e32 v7, v5, v13
	;; [unrolled: 1-line block ×3, first 2 shown]
	v_fmamk_f16 v9, v8, 0x3aee, v2
	v_fmac_f16_e32 v2, 0xbaee, v8
	v_add_f16_e32 v8, v49, v11
	v_fmac_f16_e32 v5, -0.5, v50
	v_add_f16_e32 v50, v10, v11
	v_sub_f16_e32 v10, v10, v11
	v_add_f16_e32 v52, v12, v14
	v_add_f16_e32 v53, v18, v19
	;; [unrolled: 1-line block ×3, first 2 shown]
	s_waitcnt lgkmcnt(0)
	v_lshrrev_b32_e32 v11, 16, v0
	v_pack_b32_f16 v16, v16, v9
	v_fmac_f16_e32 v15, -0.5, v50
	v_sub_f16_e32 v13, v13, v17
	v_fma_f16 v50, -0.5, v53, v0
	v_add_f16_e32 v17, v11, v12
	v_fmac_f16_e32 v11, -0.5, v52
	v_sub_f16_e32 v12, v12, v14
	v_sub_f16_e32 v52, v18, v19
	v_pack_b32_f16 v49, v3, v6
	v_pack_b32_f16 v4, v4, v2
	;; [unrolled: 1-line block ×3, first 2 shown]
	ds_read2_b32 v[2:3], v146 offset0:28 offset1:163
	ds_read2_b32 v[6:7], v161 offset0:42 offset1:177
	;; [unrolled: 1-line block ×3, first 2 shown]
	ds_write_b32 v153, v16 offset:5400
	v_fmamk_f16 v16, v10, 0xbaee, v5
	v_fmamk_f16 v53, v13, 0x3aee, v15
	v_fmamk_f16 v54, v12, 0xbaee, v50
	v_fmamk_f16 v55, v52, 0x3aee, v11
	v_fmac_f16_e32 v5, 0x3aee, v10
	v_fmac_f16_e32 v15, 0xbaee, v13
	;; [unrolled: 1-line block ×4, first 2 shown]
	ds_write_b32 v153, v4 offset:10800
	v_pack_b32_f16 v4, v16, v53
	v_pack_b32_f16 v10, v54, v55
	;; [unrolled: 1-line block ×4, first 2 shown]
	ds_write2_b32 v153, v49, v51 offset1:135
	ds_write2_b32 v165, v4, v10 offset0:77 offset1:212
	v_lshrrev_b32_e32 v4, 16, v1
	v_add_f16_e32 v0, v0, v18
	ds_write2_b32 v194, v5, v11 offset0:19 offset1:154
	v_add_f16_e32 v5, v22, v21
	v_add_f16_e32 v12, v20, v23
	;; [unrolled: 1-line block ×6, first 2 shown]
	v_fmac_f16_e32 v1, -0.5, v5
	v_sub_f16_e32 v5, v20, v23
	v_add_f16_e32 v11, v11, v23
	v_fmac_f16_e32 v4, -0.5, v12
	v_add_f16_e32 v12, v13, v21
	v_sub_f16_e32 v13, v22, v21
	v_fmamk_f16 v14, v5, 0xbaee, v1
	v_fmac_f16_e32 v1, 0x3aee, v5
	s_waitcnt lgkmcnt(7)
	v_lshrrev_b32_e32 v5, 16, v2
	v_pack_b32_f16 v0, v0, v10
	v_pack_b32_f16 v10, v12, v11
	v_fmamk_f16 v11, v13, 0x3aee, v4
	v_add_f16_e32 v12, v30, v26
	v_fmac_f16_e32 v4, 0xbaee, v13
	v_add_f16_e32 v13, v25, v27
	ds_write2_b32 v162, v0, v10 offset0:14 offset1:149
	v_add_f16_e32 v0, v2, v30
	v_fma_f16 v2, -0.5, v12, v2
	v_sub_f16_e32 v10, v25, v27
	v_add_f16_e32 v12, v5, v25
	v_fmac_f16_e32 v5, -0.5, v13
	v_sub_f16_e32 v15, v30, v26
	v_lshrrev_b32_e32 v13, 16, v3
	v_fmamk_f16 v16, v10, 0xbaee, v2
	v_fmac_f16_e32 v2, 0x3aee, v10
	v_add_f16_e32 v10, v32, v28
	v_fmamk_f16 v17, v15, 0x3aee, v5
	v_fmac_f16_e32 v5, 0xbaee, v15
	v_add_f16_e32 v15, v29, v31
	v_add_f16_e32 v18, v3, v32
	v_fmac_f16_e32 v3, -0.5, v10
	v_sub_f16_e32 v10, v29, v31
	v_add_f16_e32 v19, v13, v29
	v_fmac_f16_e32 v13, -0.5, v15
	v_add_f16_e32 v15, v18, v28
	v_sub_f16_e32 v18, v32, v28
	v_fmamk_f16 v20, v10, 0xbaee, v3
	v_fmac_f16_e32 v3, 0x3aee, v10
	s_waitcnt lgkmcnt(7)
	v_lshrrev_b32_e32 v10, 16, v6
	v_add_f16_e32 v21, v34, v39
	v_fmamk_f16 v22, v18, 0x3aee, v13
	v_fmac_f16_e32 v13, 0xbaee, v18
	v_add_f16_e32 v18, v33, v35
	v_add_f16_e32 v23, v6, v34
	v_fma_f16 v6, -0.5, v21, v6
	v_sub_f16_e32 v21, v33, v35
	v_add_f16_e32 v25, v10, v33
	v_fmac_f16_e32 v10, -0.5, v18
	v_add_f16_e32 v18, v23, v39
	v_sub_f16_e32 v23, v34, v39
	v_add_f16_e32 v0, v0, v26
	v_add_f16_e32 v12, v12, v27
	v_fmamk_f16 v26, v21, 0xbaee, v6
	v_fmac_f16_e32 v6, 0x3aee, v21
	v_add_f16_e32 v21, v25, v35
	v_pack_b32_f16 v1, v1, v4
	v_add_f16_e32 v4, v40, v37
	v_fmamk_f16 v25, v23, 0x3aee, v10
	v_fmac_f16_e32 v10, 0xbaee, v23
	v_lshrrev_b32_e32 v23, 16, v7
	v_add_f16_e32 v27, v36, v38
	v_add_f16_e32 v32, v41, v46
	;; [unrolled: 1-line block ×3, first 2 shown]
	v_fmac_f16_e32 v7, -0.5, v4
	v_sub_f16_e32 v4, v36, v38
	v_add_f16_e32 v29, v23, v36
	v_fmac_f16_e32 v23, -0.5, v27
	v_sub_f16_e32 v27, v40, v37
	v_add_f16_e32 v19, v19, v31
	s_waitcnt lgkmcnt(6)
	v_lshrrev_b32_e32 v31, 16, v8
	v_add_f16_e32 v33, v8, v41
	v_fma_f16 v8, -0.5, v32, v8
	v_sub_f16_e32 v32, v42, v45
	v_fmamk_f16 v30, v4, 0xbaee, v7
	v_fmac_f16_e32 v7, 0x3aee, v4
	v_add_f16_e32 v4, v29, v38
	v_fmamk_f16 v29, v27, 0x3aee, v23
	v_fmac_f16_e32 v23, 0xbaee, v27
	v_add_f16_e32 v27, v42, v45
	v_add_f16_e32 v35, v47, v48
	v_fmamk_f16 v36, v32, 0xbaee, v8
	v_fmac_f16_e32 v8, 0x3aee, v32
	v_lshrrev_b32_e32 v32, 16, v9
	v_add_f16_e32 v28, v28, v37
	v_add_f16_e32 v34, v31, v42
	v_fmac_f16_e32 v31, -0.5, v27
	v_add_f16_e32 v27, v33, v46
	v_sub_f16_e32 v33, v41, v46
	v_add_f16_e32 v37, v9, v47
	v_fmac_f16_e32 v9, -0.5, v35
	v_sub_f16_e32 v35, v43, v44
	v_add_f16_e32 v39, v43, v44
	v_pack_b32_f16 v11, v14, v11
	v_pack_b32_f16 v14, v16, v17
	;; [unrolled: 1-line block ×3, first 2 shown]
	v_add_f16_e32 v40, v32, v43
	v_fmamk_f16 v38, v33, 0x3aee, v31
	v_fmac_f16_e32 v31, 0xbaee, v33
	v_fmamk_f16 v33, v35, 0xbaee, v9
	v_fmac_f16_e32 v9, 0x3aee, v35
	v_fmac_f16_e32 v32, -0.5, v39
	v_add_f16_e32 v35, v37, v48
	v_sub_f16_e32 v37, v47, v48
	v_pack_b32_f16 v0, v0, v12
	ds_write2_b32 v163, v11, v14 offset0:91 offset1:226
	ds_write2_b32 v186, v1, v2 offset0:33 offset1:168
	v_pack_b32_f16 v1, v15, v19
	v_pack_b32_f16 v3, v3, v13
	;; [unrolled: 1-line block ×4, first 2 shown]
	v_add_f16_e32 v34, v34, v45
	v_add_f16_e32 v39, v40, v44
	v_pack_b32_f16 v2, v20, v22
	v_pack_b32_f16 v11, v26, v25
	v_fmamk_f16 v5, v37, 0x3aee, v32
	v_fmac_f16_e32 v32, 0xbaee, v37
	ds_write2_b32 v146, v0, v1 offset0:28 offset1:163
	ds_write_b32 v153, v3 offset:13500
	ds_write2_b32 v193, v2, v11 offset0:105 offset1:240
	v_pack_b32_f16 v0, v6, v10
	v_pack_b32_f16 v2, v7, v23
	ds_write2_b32 v161, v12, v4 offset0:42 offset1:177
	v_pack_b32_f16 v1, v30, v29
	v_pack_b32_f16 v4, v36, v38
	;; [unrolled: 1-line block ×7, first 2 shown]
	ds_write2_b32 v150, v0, v2 offset0:54 offset1:189
	ds_write2_b32 v195, v1, v4 offset0:119 offset1:254
	;; [unrolled: 1-line block ×3, first 2 shown]
	ds_write_b32 v153, v5 offset:10260
	ds_write2_b32 v134, v6, v8 offset0:68 offset1:203
	s_waitcnt lgkmcnt(0)
	s_barrier
	buffer_gl0_inv
	ds_read2_b32 v[12:13], v153 offset1:135
	ds_read2_b32 v[4:5], v162 offset0:14 offset1:149
	s_waitcnt lgkmcnt(1)
	v_lshrrev_b32_e32 v2, 16, v12
	v_mul_f16_sdwa v3, v154, v12 dst_sel:DWORD dst_unused:UNUSED_PAD src0_sel:WORD_1 src1_sel:DWORD
	s_waitcnt lgkmcnt(0)
	v_lshrrev_b32_e32 v10, 16, v5
	v_mul_f16_sdwa v0, v154, v2 dst_sel:DWORD dst_unused:UNUSED_PAD src0_sel:WORD_1 src1_sel:DWORD
	v_fma_f16 v2, v154, v2, -v3
	v_fmac_f16_e32 v0, v154, v12
	v_cvt_f32_f16_e32 v2, v2
	v_cvt_f32_f16_e32 v0, v0
	v_cvt_f64_f32_e32 v[2:3], v2
	v_cvt_f64_f32_e32 v[0:1], v0
	v_mul_f64 v[2:3], v[2:3], s[2:3]
	v_mul_f64 v[0:1], v[0:1], s[2:3]
	v_and_or_b32 v2, 0x1ff, v3, v2
	v_lshrrev_b32_e32 v8, 8, v3
	v_bfe_u32 v12, v3, 20, 11
	v_lshrrev_b32_e32 v3, 16, v3
	v_and_or_b32 v0, 0x1ff, v1, v0
	v_lshrrev_b32_e32 v6, 8, v1
	v_bfe_u32 v7, v1, 20, 11
	v_sub_nc_u32_e32 v14, 0x3f1, v12
	v_add_nc_u32_e32 v17, 0xfffffc10, v12
	v_cmp_ne_u32_e32 vcc_lo, 0, v0
	v_lshrrev_b32_e32 v18, 16, v1
	v_add_nc_u32_e32 v16, 0xfffffc10, v7
	v_med3_i32 v14, v14, 0, 13
	v_cmp_gt_i32_e64 s1, 1, v17
	v_cndmask_b32_e64 v0, 0, 1, vcc_lo
	v_cmp_ne_u32_e32 vcc_lo, 0, v2
	v_and_or_b32 v9, 0xffe, v6, v0
	v_sub_nc_u32_e32 v0, 0x3f1, v7
	v_cndmask_b32_e64 v2, 0, 1, vcc_lo
	v_or_b32_e32 v6, 0x1000, v9
	v_med3_i32 v0, v0, 0, 13
	v_and_or_b32 v2, 0xffe, v8, v2
	v_mul_f16_sdwa v8, v151, v10 dst_sel:DWORD dst_unused:UNUSED_PAD src0_sel:WORD_1 src1_sel:DWORD
	v_lshrrev_b32_e32 v11, v0, v6
	v_or_b32_e32 v15, 0x1000, v2
	v_fmac_f16_e32 v8, v151, v5
	v_mul_f16_sdwa v5, v151, v5 dst_sel:DWORD dst_unused:UNUSED_PAD src0_sel:WORD_1 src1_sel:DWORD
	v_lshlrev_b32_e32 v0, v0, v11
	v_fma_f16 v10, v151, v10, -v5
	v_cmp_ne_u32_e32 vcc_lo, v0, v6
	v_cvt_f32_f16_e32 v6, v8
	v_lshl_or_b32 v8, v16, 12, v9
	v_cndmask_b32_e64 v0, 0, 1, vcc_lo
	v_cvt_f64_f32_e32 v[6:7], v6
	v_cmp_gt_i32_e32 vcc_lo, 1, v16
	v_or_b32_e32 v0, v11, v0
	v_lshrrev_b32_e32 v11, v14, v15
	v_cndmask_b32_e32 v0, v8, v0, vcc_lo
	v_lshlrev_b32_e32 v8, v14, v11
	v_and_b32_e32 v14, 7, v0
	v_cmp_ne_u32_e32 vcc_lo, v8, v15
	v_lshl_or_b32 v15, v17, 12, v2
	v_lshrrev_b32_e32 v0, 2, v0
	v_cmp_eq_u32_e64 s0, 3, v14
	v_cndmask_b32_e64 v8, 0, 1, vcc_lo
	v_cmp_lt_i32_e32 vcc_lo, 5, v14
	v_mul_f64 v[5:6], v[6:7], s[2:3]
	v_cvt_f32_f16_e32 v7, v10
	v_or_b32_e32 v8, v11, v8
	s_or_b32 vcc_lo, s0, vcc_lo
	v_mad_u64_u32 v[11:12], null, s10, v24, 0
	v_add_co_ci_u32_e32 v10, vcc_lo, 0, v0, vcc_lo
	v_cndmask_b32_e64 v14, v15, v8, s1
	v_cvt_f64_f32_e32 v[7:8], v7
	v_cmp_ne_u32_e32 vcc_lo, 0, v9
	v_cmp_gt_i32_e64 s1, 31, v16
	v_mov_b32_e32 v0, v12
	v_and_b32_e32 v15, 7, v14
	v_lshrrev_b32_e32 v12, 2, v14
	v_cndmask_b32_e64 v9, 0, 1, vcc_lo
	v_cndmask_b32_e64 v10, 0x7c00, v10, s1
	v_cmp_lt_i32_e32 vcc_lo, 5, v15
	v_cmp_eq_u32_e64 s0, 3, v15
	v_lshl_or_b32 v9, v9, 9, 0x7c00
	v_and_or_b32 v5, 0x1ff, v6, v5
	v_lshrrev_b32_e32 v20, 8, v6
	v_bfe_u32 v21, v6, 20, 11
	s_or_b32 vcc_lo, s0, vcc_lo
	s_load_dwordx2 s[0:1], s[4:5], 0x38
	v_add_co_ci_u32_e32 v12, vcc_lo, 0, v12, vcc_lo
	v_cmp_eq_u32_e32 vcc_lo, 0x40f, v16
	v_lshrrev_b32_e32 v25, 16, v6
	s_mul_i32 s4, s9, 0x654
	s_mul_i32 s5, s8, 0x654
	v_cndmask_b32_e32 v16, v10, v9, vcc_lo
	v_cmp_ne_u32_e32 vcc_lo, 0, v2
	v_mul_f64 v[1:2], v[7:8], s[2:3]
	ds_read2_b32 v[9:10], v161 offset0:42 offset1:177
	v_mad_u64_u32 v[7:8], null, s8, v148, 0
	v_cndmask_b32_e64 v14, 0, 1, vcc_lo
	v_cmp_gt_i32_e32 vcc_lo, 31, v17
	v_and_or_b32 v18, 0x8000, v18, v16
	v_lshl_or_b32 v19, v14, 9, 0x7c00
	v_cndmask_b32_e32 v12, 0x7c00, v12, vcc_lo
	v_cmp_ne_u32_e32 vcc_lo, 0, v5
	v_cndmask_b32_e64 v5, 0, 1, vcc_lo
	v_cmp_eq_u32_e32 vcc_lo, 0x40f, v17
	v_and_or_b32 v5, 0xffe, v20, v5
	v_mad_u64_u32 v[14:15], null, s11, v24, v[0:1]
	v_sub_nc_u32_e32 v15, 0x3f1, v21
	v_mov_b32_e32 v0, v8
	s_waitcnt lgkmcnt(0)
	v_lshrrev_b32_e32 v20, 16, v9
	v_cndmask_b32_e32 v17, v12, v19, vcc_lo
	v_or_b32_e32 v8, 0x1000, v5
	v_med3_i32 v19, v15, 0, 13
	v_mad_u64_u32 v[15:16], null, s9, v148, v[0:1]
	v_and_or_b32 v0, 0x1ff, v2, v1
	v_mul_f16_sdwa v1, v152, v20 dst_sel:DWORD dst_unused:UNUSED_PAD src0_sel:WORD_1 src1_sel:DWORD
	v_lshrrev_b32_e32 v16, v19, v8
	v_and_or_b32 v3, 0x8000, v3, v17
	v_lshrrev_b32_e32 v17, 8, v2
	v_cmp_ne_u32_e32 vcc_lo, 0, v0
	v_fmac_f16_e32 v1, v152, v9
	v_mov_b32_e32 v12, v14
	v_lshlrev_b32_e32 v14, v19, v16
	v_bfe_u32 v19, v2, 20, 11
	v_cndmask_b32_e64 v0, 0, 1, vcc_lo
	v_cvt_f32_f16_e32 v1, v1
	v_add_nc_u32_e32 v21, 0xfffffc10, v21
	v_cmp_ne_u32_e32 vcc_lo, v14, v8
	v_sub_nc_u32_e32 v14, 0x3f1, v19
	v_and_or_b32 v22, 0xffe, v17, v0
	v_cvt_f64_f32_e32 v[0:1], v1
	v_and_b32_e32 v17, 0xffff, v18
	v_cndmask_b32_e64 v8, 0, 1, vcc_lo
	v_med3_i32 v14, v14, 0, 13
	v_or_b32_e32 v18, 0x1000, v22
	v_lshl_or_b32 v23, v21, 12, v5
	v_cmp_gt_i32_e32 vcc_lo, 1, v21
	v_or_b32_e32 v16, v16, v8
	v_mul_f16_sdwa v9, v152, v9 dst_sel:DWORD dst_unused:UNUSED_PAD src0_sel:WORD_1 src1_sel:DWORD
	v_lshrrev_b32_e32 v24, v14, v18
	v_lshlrev_b64 v[11:12], 2, v[11:12]
	v_mov_b32_e32 v8, v15
	v_cndmask_b32_e32 v16, v23, v16, vcc_lo
	v_lshl_or_b32 v23, v3, 16, v17
	v_lshlrev_b32_e32 v3, v14, v24
	v_fma_f16 v9, v152, v20, -v9
	v_add_co_u32 v17, vcc_lo, s0, v11
	v_and_b32_e32 v14, 7, v16
	v_cmp_ne_u32_e64 s0, v3, v18
	v_add_co_ci_u32_e32 v20, vcc_lo, s1, v12, vcc_lo
	v_mul_f64 v[11:12], v[0:1], s[2:3]
	v_cvt_f32_f16_e32 v0, v9
	v_cmp_lt_i32_e32 vcc_lo, 5, v14
	v_cndmask_b32_e64 v1, 0, 1, s0
	v_cmp_eq_u32_e64 s0, 3, v14
	v_add_nc_u32_e32 v3, 0xfffffc10, v19
	v_cvt_f64_f32_e32 v[14:15], v0
	v_lshrrev_b32_e32 v0, 2, v16
	v_lshlrev_b64 v[7:8], 2, v[7:8]
	s_or_b32 vcc_lo, s0, vcc_lo
	v_or_b32_e32 v9, v24, v1
	v_lshl_or_b32 v16, v3, 12, v22
	v_add_co_ci_u32_e32 v18, vcc_lo, 0, v0, vcc_lo
	v_cmp_ne_u32_e32 vcc_lo, 0, v5
	ds_read2_b32 v[0:1], v160 offset0:56 offset1:191
	v_cndmask_b32_e64 v5, 0, 1, vcc_lo
	v_cmp_gt_i32_e32 vcc_lo, 1, v3
	v_lshl_or_b32 v5, v5, 9, 0x7c00
	v_cndmask_b32_e32 v9, v16, v9, vcc_lo
	v_add_co_u32 v16, vcc_lo, v17, v7
	v_and_or_b32 v7, 0x1ff, v12, v11
	v_add_co_ci_u32_e32 v17, vcc_lo, v20, v8, vcc_lo
	v_and_b32_e32 v19, 7, v9
	v_cmp_gt_i32_e32 vcc_lo, 31, v21
	v_cmp_ne_u32_e64 s0, 0, v7
	v_mul_f64 v[7:8], v[14:15], s[2:3]
	v_lshrrev_b32_e32 v9, 2, v9
	v_lshrrev_b32_e32 v20, 8, v12
	v_cndmask_b32_e32 v11, 0x7c00, v18, vcc_lo
	v_cmp_lt_i32_e32 vcc_lo, 5, v19
	v_cndmask_b32_e64 v18, 0, 1, s0
	v_cmp_eq_u32_e64 s0, 3, v19
	v_bfe_u32 v14, v12, 20, 11
	s_waitcnt lgkmcnt(0)
	v_lshrrev_b32_e32 v15, 16, v1
	global_store_dword v[16:17], v23, off
	v_and_or_b32 v18, 0xffe, v20, v18
	s_or_b32 vcc_lo, s0, vcc_lo
	v_sub_nc_u32_e32 v19, 0x3f1, v14
	v_add_co_ci_u32_e32 v9, vcc_lo, 0, v9, vcc_lo
	v_cmp_eq_u32_e32 vcc_lo, 0x40f, v21
	v_mul_f16_sdwa v20, v149, v15 dst_sel:DWORD dst_unused:UNUSED_PAD src0_sel:WORD_1 src1_sel:DWORD
	v_or_b32_e32 v24, 0x1000, v18
	v_med3_i32 v19, v19, 0, 13
	v_lshrrev_b32_e32 v12, 16, v12
	v_cndmask_b32_e32 v11, v11, v5, vcc_lo
	v_cmp_ne_u32_e32 vcc_lo, 0, v22
	v_fmac_f16_e32 v20, v149, v1
	v_lshrrev_b32_e32 v21, v19, v24
	v_and_or_b32 v7, 0x1ff, v8, v7
	v_mul_f16_sdwa v1, v149, v1 dst_sel:DWORD dst_unused:UNUSED_PAD src0_sel:WORD_1 src1_sel:DWORD
	v_cndmask_b32_e64 v5, 0, 1, vcc_lo
	v_cmp_gt_i32_e32 vcc_lo, 31, v3
	v_cvt_f32_f16_e32 v20, v20
	v_lshlrev_b32_e32 v19, v19, v21
	v_fma_f16 v1, v149, v15, -v1
	v_lshl_or_b32 v22, v5, 9, 0x7c00
	v_cndmask_b32_e32 v9, 0x7c00, v9, vcc_lo
	v_cmp_eq_u32_e32 vcc_lo, 0x40f, v3
	v_cvt_f64_f32_e32 v[5:6], v20
	v_bfe_u32 v20, v8, 20, 11
	v_and_or_b32 v11, 0x8000, v25, v11
	v_cvt_f32_f16_e32 v1, v1
	v_cndmask_b32_e32 v9, v9, v22, vcc_lo
	v_cmp_ne_u32_e32 vcc_lo, 0, v7
	v_lshrrev_b32_e32 v7, 8, v8
	v_add_nc_u32_e32 v22, 0xfffffc10, v14
	v_lshrrev_b32_e32 v8, 16, v8
	v_cndmask_b32_e64 v3, 0, 1, vcc_lo
	v_cmp_ne_u32_e32 vcc_lo, v19, v24
	v_lshl_or_b32 v14, v22, 12, v18
	v_and_or_b32 v24, 0xffe, v7, v3
	v_cndmask_b32_e64 v19, 0, 1, vcc_lo
	v_cmp_gt_i32_e32 vcc_lo, 1, v22
	v_lshrrev_b32_e32 v7, 16, v2
	v_sub_nc_u32_e32 v2, 0x3f1, v20
	v_or_b32_e32 v3, v21, v19
	v_or_b32_e32 v19, 0x1000, v24
	v_med3_i32 v21, v2, 0, 13
	v_cndmask_b32_e32 v25, v14, v3, vcc_lo
	v_mul_f64 v[2:3], v[5:6], s[2:3]
	v_and_or_b32 v5, 0x8000, v7, v9
	v_cvt_f64_f32_e32 v[14:15], v1
	v_lshrrev_b32_e32 v26, v21, v19
	v_and_b32_e32 v7, 7, v25
	v_lshrrev_b32_e32 v1, 2, v25
	v_and_b32_e32 v6, 0xffff, v11
	v_lshlrev_b32_e32 v9, v21, v26
	v_cmp_lt_i32_e32 vcc_lo, 5, v7
	v_cmp_eq_u32_e64 s0, 3, v7
	v_lshl_or_b32 v21, v5, 16, v6
	ds_read2_b32 v[6:7], v159 offset0:84 offset1:219
	v_cmp_ne_u32_e64 s1, v9, v19
	v_add_nc_u32_e32 v9, 0xfffffc10, v20
	s_or_b32 vcc_lo, s0, vcc_lo
	s_mul_hi_u32 s0, s8, 0x654
	v_add_co_ci_u32_e32 v1, vcc_lo, 0, v1, vcc_lo
	v_cmp_ne_u32_e32 vcc_lo, 0, v18
	v_cndmask_b32_e64 v5, 0, 1, s1
	v_lshl_or_b32 v11, v9, 12, v24
	v_and_or_b32 v2, 0x1ff, v3, v2
	v_bfe_u32 v19, v3, 20, 11
	v_cndmask_b32_e64 v18, 0, 1, vcc_lo
	v_cmp_gt_i32_e32 vcc_lo, 31, v22
	v_or_b32_e32 v5, v26, v5
	v_mul_f64 v[14:15], v[14:15], s[2:3]
	v_cmp_eq_u32_e64 s1, 0x40f, v22
	v_lshl_or_b32 v18, v18, 9, 0x7c00
	v_cndmask_b32_e32 v1, 0x7c00, v1, vcc_lo
	v_cmp_gt_i32_e32 vcc_lo, 1, v9
	s_waitcnt lgkmcnt(0)
	v_lshrrev_b32_e32 v23, 16, v6
	s_add_i32 s4, s0, s4
	v_cndmask_b32_e64 v18, v1, v18, s1
	v_cndmask_b32_e32 v5, v11, v5, vcc_lo
	v_cmp_ne_u32_e32 vcc_lo, 0, v2
	v_lshrrev_b32_e32 v11, 8, v3
	v_mul_f16_sdwa v25, v147, v23 dst_sel:DWORD dst_unused:UNUSED_PAD src0_sel:WORD_1 src1_sel:DWORD
	v_and_or_b32 v12, 0x8000, v12, v18
	v_and_b32_e32 v20, 7, v5
	v_cndmask_b32_e64 v2, 0, 1, vcc_lo
	v_lshrrev_b32_e32 v1, 2, v5
	v_fmac_f16_e32 v25, v147, v6
	v_mul_f16_sdwa v18, v147, v6 dst_sel:DWORD dst_unused:UNUSED_PAD src0_sel:WORD_1 src1_sel:DWORD
	v_cmp_lt_i32_e32 vcc_lo, 5, v20
	v_cmp_eq_u32_e64 s0, 3, v20
	v_and_or_b32 v11, 0xffe, v11, v2
	v_sub_nc_u32_e32 v2, 0x3f1, v19
	v_and_or_b32 v14, 0x1ff, v15, v14
	v_cvt_f32_f16_e32 v22, v25
	s_or_b32 vcc_lo, s0, vcc_lo
	v_or_b32_e32 v20, 0x1000, v11
	v_med3_i32 v2, v2, 0, 13
	v_add_co_ci_u32_e32 v1, vcc_lo, 0, v1, vcc_lo
	v_cmp_gt_i32_e32 vcc_lo, 31, v9
	v_bfe_u32 v27, v15, 20, 11
	v_lshrrev_b32_e32 v5, v2, v20
	v_add_nc_u32_e32 v19, 0xfffffc10, v19
	v_and_b32_e32 v12, 0xffff, v12
	v_cndmask_b32_e32 v26, 0x7c00, v1, vcc_lo
	v_cmp_ne_u32_e32 vcc_lo, 0, v14
	v_lshlrev_b32_e32 v25, v2, v5
	v_cvt_f64_f32_e32 v[1:2], v22
	v_lshrrev_b32_e32 v22, 8, v15
	v_lshrrev_b32_e32 v3, 16, v3
	v_cndmask_b32_e64 v14, 0, 1, vcc_lo
	v_cmp_ne_u32_e32 vcc_lo, 0, v24
	v_and_or_b32 v14, 0xffe, v22, v14
	v_cndmask_b32_e64 v24, 0, 1, vcc_lo
	v_cmp_ne_u32_e32 vcc_lo, v25, v20
	v_sub_nc_u32_e32 v22, 0x3f1, v27
	v_or_b32_e32 v25, 0x1000, v14
	v_lshl_or_b32 v24, v24, 9, 0x7c00
	v_cndmask_b32_e64 v20, 0, 1, vcc_lo
	v_med3_i32 v22, v22, 0, 13
	v_cmp_eq_u32_e32 vcc_lo, 0x40f, v9
	v_or_b32_e32 v5, v5, v20
	v_lshl_or_b32 v20, v19, 12, v11
	v_cndmask_b32_e32 v9, v26, v24, vcc_lo
	v_cmp_gt_i32_e32 vcc_lo, 1, v19
	v_lshrrev_b32_e32 v24, v22, v25
	v_cndmask_b32_e32 v20, v20, v5, vcc_lo
	v_mul_f64 v[5:6], v[1:2], s[2:3]
	v_lshlrev_b32_e32 v2, v22, v24
	v_fma_f16 v1, v147, v23, -v18
	v_and_or_b32 v18, 0x8000, v8, v9
	v_add_co_u32 v8, vcc_lo, v16, s5
	v_add_co_ci_u32_e32 v9, vcc_lo, s4, v17, vcc_lo
	v_and_b32_e32 v22, 7, v20
	v_cmp_ne_u32_e32 vcc_lo, v2, v25
	v_lshrrev_b32_e32 v20, 2, v20
	v_add_nc_u32_e32 v17, 0xfffffc10, v27
	v_cvt_f32_f16_e32 v1, v1
	v_cmp_eq_u32_e64 s0, 3, v22
	v_cndmask_b32_e64 v16, 0, 1, vcc_lo
	v_cmp_lt_i32_e32 vcc_lo, 5, v22
	v_lshl_or_b32 v22, v17, 12, v14
	v_cvt_f64_f32_e32 v[1:2], v1
	v_lshl_or_b32 v18, v18, 16, v12
	v_or_b32_e32 v16, v24, v16
	s_or_b32 vcc_lo, s0, vcc_lo
	v_add_co_ci_u32_e32 v20, vcc_lo, 0, v20, vcc_lo
	v_cmp_gt_i32_e32 vcc_lo, 1, v17
	v_and_or_b32 v5, 0x1ff, v6, v5
	v_lshrrev_b32_e32 v23, 8, v6
	v_bfe_u32 v24, v6, 20, 11
	v_lshrrev_b32_e32 v6, 16, v6
	v_cndmask_b32_e32 v16, v22, v16, vcc_lo
	v_cmp_ne_u32_e32 vcc_lo, 0, v11
	v_and_b32_e32 v25, 7, v16
	v_cndmask_b32_e64 v22, 0, 1, vcc_lo
	v_cmp_gt_i32_e32 vcc_lo, 31, v19
	v_lshrrev_b32_e32 v16, 2, v16
	v_cmp_eq_u32_e64 s0, 3, v25
	v_mul_f64 v[11:12], v[1:2], s[2:3]
	v_cndmask_b32_e32 v20, 0x7c00, v20, vcc_lo
	v_cmp_ne_u32_e32 vcc_lo, 0, v5
	ds_read2_b32 v[1:2], v158 offset0:98 offset1:233
	v_lshl_or_b32 v22, v22, 9, 0x7c00
	v_cndmask_b32_e64 v5, 0, 1, vcc_lo
	v_cmp_lt_i32_e32 vcc_lo, 5, v25
	v_and_or_b32 v5, 0xffe, v23, v5
	s_or_b32 vcc_lo, s0, vcc_lo
	v_sub_nc_u32_e32 v23, 0x3f1, v24
	v_add_co_ci_u32_e32 v16, vcc_lo, 0, v16, vcc_lo
	v_cmp_ne_u32_e32 vcc_lo, 0, v14
	v_or_b32_e32 v25, 0x1000, v5
	v_med3_i32 v23, v23, 0, 13
	v_cndmask_b32_e64 v14, 0, 1, vcc_lo
	v_cmp_eq_u32_e32 vcc_lo, 0x40f, v19
	v_lshrrev_b32_e32 v26, v23, v25
	v_and_or_b32 v11, 0x1ff, v12, v11
	v_lshl_or_b32 v14, v14, 9, 0x7c00
	v_cndmask_b32_e32 v19, v20, v22, vcc_lo
	v_cmp_gt_i32_e32 vcc_lo, 31, v17
	s_waitcnt lgkmcnt(0)
	v_lshrrev_b32_e32 v20, 16, v2
	v_lshlrev_b32_e32 v22, v23, v26
	v_and_or_b32 v3, 0x8000, v3, v19
	v_cndmask_b32_e32 v16, 0x7c00, v16, vcc_lo
	v_cmp_eq_u32_e32 vcc_lo, 0x40f, v17
	v_mul_f16_sdwa v19, v145, v20 dst_sel:DWORD dst_unused:UNUSED_PAD src0_sel:WORD_1 src1_sel:DWORD
	v_cndmask_b32_e32 v23, v16, v14, vcc_lo
	v_cmp_ne_u32_e32 vcc_lo, v22, v25
	v_fmac_f16_e32 v19, v145, v2
	v_lshrrev_b32_e32 v16, 8, v12
	v_add_nc_u32_e32 v22, 0xfffffc10, v24
	v_mul_f16_sdwa v2, v145, v2 dst_sel:DWORD dst_unused:UNUSED_PAD src0_sel:WORD_1 src1_sel:DWORD
	v_cndmask_b32_e64 v14, 0, 1, vcc_lo
	v_cmp_ne_u32_e32 vcc_lo, 0, v11
	v_cvt_f32_f16_e32 v17, v19
	v_bfe_u32 v19, v12, 20, 11
	v_lshl_or_b32 v24, v22, 12, v5
	v_or_b32_e32 v14, v26, v14
	v_cndmask_b32_e64 v11, 0, 1, vcc_lo
	v_cmp_gt_i32_e32 vcc_lo, 1, v22
	v_sub_nc_u32_e32 v25, 0x3f1, v19
	v_lshrrev_b32_e32 v26, 16, v15
	v_fma_f16 v2, v145, v20, -v2
	v_and_or_b32 v11, 0xffe, v16, v11
	v_cvt_f64_f32_e32 v[16:17], v17
	v_med3_i32 v25, v25, 0, 13
	v_cndmask_b32_e32 v24, v24, v14, vcc_lo
	v_and_or_b32 v23, 0x8000, v26, v23
	v_or_b32_e32 v27, 0x1000, v11
	v_and_b32_e32 v26, 0xffff, v3
	v_add_co_u32 v14, vcc_lo, v8, s5
	v_and_b32_e32 v3, 7, v24
	v_lshrrev_b32_e32 v28, v25, v27
	v_add_co_ci_u32_e32 v15, vcc_lo, s4, v9, vcc_lo
	global_store_dword v[8:9], v21, off
	global_store_dword v[14:15], v18, off
	v_lshlrev_b32_e32 v20, v25, v28
	v_cmp_lt_i32_e32 vcc_lo, 5, v3
	v_cmp_eq_u32_e64 s0, 3, v3
	v_lshrrev_b32_e32 v9, 2, v24
	v_cvt_f32_f16_e32 v2, v2
	v_cmp_ne_u32_e64 s1, v20, v27
	v_add_nc_u32_e32 v20, 0xfffffc10, v19
	v_mul_f64 v[16:17], v[16:17], s[2:3]
	s_or_b32 vcc_lo, s0, vcc_lo
	v_cvt_f64_f32_e32 v[2:3], v2
	v_add_co_ci_u32_e32 v19, vcc_lo, 0, v9, vcc_lo
	v_cndmask_b32_e64 v8, 0, 1, s1
	v_cmp_ne_u32_e32 vcc_lo, 0, v5
	v_lshl_or_b32 v18, v20, 12, v11
	v_lshl_or_b32 v21, v23, 16, v26
	v_lshrrev_b32_e32 v12, 16, v12
	v_or_b32_e32 v8, v28, v8
	v_cndmask_b32_e64 v5, 0, 1, vcc_lo
	v_cmp_gt_i32_e32 vcc_lo, 1, v20
	v_lshl_or_b32 v5, v5, 9, 0x7c00
	v_cndmask_b32_e32 v23, v18, v8, vcc_lo
	v_cmp_gt_i32_e32 vcc_lo, 31, v22
	ds_read2_b32 v[8:9], v157 offset0:62 offset1:197
	v_and_or_b32 v16, 0x1ff, v17, v16
	v_cndmask_b32_e32 v24, 0x7c00, v19, vcc_lo
	v_add_co_u32 v14, vcc_lo, v14, s5
	v_add_co_ci_u32_e32 v15, vcc_lo, s4, v15, vcc_lo
	v_cmp_eq_u32_e32 vcc_lo, 0x40f, v22
	v_and_b32_e32 v25, 7, v23
	v_mul_f64 v[18:19], v[2:3], s[2:3]
	v_lshrrev_b32_e32 v3, 8, v17
	v_lshrrev_b32_e32 v22, 2, v23
	v_cndmask_b32_e32 v5, v24, v5, vcc_lo
	v_cmp_ne_u32_e32 vcc_lo, 0, v16
	v_cmp_eq_u32_e64 s0, 3, v25
	v_bfe_u32 v16, v17, 20, 11
	global_store_dword v[14:15], v21, off
	v_lshrrev_b32_e32 v17, 16, v17
	v_cndmask_b32_e64 v2, 0, 1, vcc_lo
	v_cmp_lt_i32_e32 vcc_lo, 5, v25
	s_waitcnt lgkmcnt(0)
	v_lshrrev_b32_e32 v24, 16, v8
	v_and_or_b32 v23, 0xffe, v3, v2
	s_or_b32 vcc_lo, s0, vcc_lo
	v_sub_nc_u32_e32 v2, 0x3f1, v16
	v_add_co_ci_u32_e32 v3, vcc_lo, 0, v22, vcc_lo
	v_cmp_ne_u32_e32 vcc_lo, 0, v11
	v_mul_f16_sdwa v22, v144, v24 dst_sel:DWORD dst_unused:UNUSED_PAD src0_sel:WORD_1 src1_sel:DWORD
	v_or_b32_e32 v25, 0x1000, v23
	v_med3_i32 v2, v2, 0, 13
	v_add_nc_u32_e32 v16, 0xfffffc10, v16
	v_cndmask_b32_e64 v11, 0, 1, vcc_lo
	v_cmp_gt_i32_e32 vcc_lo, 31, v20
	v_fmac_f16_e32 v22, v144, v8
	v_lshrrev_b32_e32 v27, v2, v25
	v_mul_f16_sdwa v8, v144, v8 dst_sel:DWORD dst_unused:UNUSED_PAD src0_sel:WORD_1 src1_sel:DWORD
	v_lshl_or_b32 v11, v11, 9, 0x7c00
	v_cndmask_b32_e32 v26, 0x7c00, v3, vcc_lo
	v_and_or_b32 v3, 0x1ff, v19, v18
	v_cvt_f32_f16_e32 v18, v22
	v_lshlrev_b32_e32 v22, v2, v27
	v_fma_f16 v8, v144, v24, -v8
	v_cmp_ne_u32_e32 vcc_lo, 0, v3
	v_cvt_f64_f32_e32 v[2:3], v18
	v_lshrrev_b32_e32 v18, 8, v19
	v_cvt_f32_f16_e32 v8, v8
	v_cndmask_b32_e64 v28, 0, 1, vcc_lo
	v_cmp_eq_u32_e32 vcc_lo, 0x40f, v20
	v_bfe_u32 v20, v19, 20, 11
	v_and_or_b32 v18, 0xffe, v18, v28
	v_cndmask_b32_e32 v11, v26, v11, vcc_lo
	v_cmp_ne_u32_e32 vcc_lo, v22, v25
	v_sub_nc_u32_e32 v25, 0x3f1, v20
	v_and_or_b32 v26, 0x8000, v6, v5
	v_or_b32_e32 v28, 0x1000, v18
	v_lshl_or_b32 v6, v16, 12, v23
	v_cndmask_b32_e64 v22, 0, 1, vcc_lo
	v_cmp_gt_i32_e32 vcc_lo, 1, v16
	v_and_or_b32 v11, 0x8000, v12, v11
	v_or_b32_e32 v5, v27, v22
	v_med3_i32 v22, v25, 0, 13
	v_cndmask_b32_e32 v25, v6, v5, vcc_lo
	v_lshrrev_b32_e32 v27, v22, v28
	v_mul_f64 v[5:6], v[2:3], s[2:3]
	v_and_b32_e32 v2, 0xffff, v26
	v_and_b32_e32 v3, 7, v25
	v_lshlrev_b32_e32 v12, v22, v27
	v_lshl_or_b32 v22, v11, 16, v2
	v_cmp_lt_i32_e32 vcc_lo, 5, v3
	v_cmp_ne_u32_e64 s0, v12, v28
	v_cvt_f64_f32_e32 v[11:12], v8
	v_add_nc_u32_e32 v8, 0xfffffc10, v20
	v_lshrrev_b32_e32 v20, 2, v25
	v_cndmask_b32_e64 v21, 0, 1, s0
	v_cmp_eq_u32_e64 s0, 3, v3
	ds_read2_b32 v[2:3], v156 offset0:12 offset1:147
	v_lshl_or_b32 v24, v8, 12, v18
	v_or_b32_e32 v21, v27, v21
	s_or_b32 vcc_lo, s0, vcc_lo
	v_add_co_ci_u32_e32 v20, vcc_lo, 0, v20, vcc_lo
	v_cmp_ne_u32_e32 vcc_lo, 0, v23
	v_and_or_b32 v5, 0x1ff, v6, v5
	v_bfe_u32 v28, v6, 20, 11
	v_cndmask_b32_e64 v23, 0, 1, vcc_lo
	v_cmp_gt_i32_e32 vcc_lo, 1, v8
	v_lshl_or_b32 v23, v23, 9, 0x7c00
	v_cndmask_b32_e32 v24, v24, v21, vcc_lo
	v_add_co_u32 v14, vcc_lo, v14, s5
	v_add_co_ci_u32_e32 v15, vcc_lo, s4, v15, vcc_lo
	v_cmp_gt_i32_e32 vcc_lo, 31, v16
	v_and_b32_e32 v26, 7, v24
	s_waitcnt lgkmcnt(0)
	v_lshrrev_b32_e32 v27, 16, v3
	global_store_dword v[14:15], v22, off
	v_add_co_u32 v14, s1, v14, s5
	v_cndmask_b32_e32 v25, 0x7c00, v20, vcc_lo
	v_cmp_ne_u32_e32 vcc_lo, 0, v5
	v_mul_f64 v[20:21], v[11:12], s[2:3]
	v_lshrrev_b32_e32 v11, 8, v6
	v_cmp_eq_u32_e64 s0, 3, v26
	v_mul_f16_sdwa v12, v142, v27 dst_sel:DWORD dst_unused:UNUSED_PAD src0_sel:WORD_1 src1_sel:DWORD
	v_cndmask_b32_e64 v5, 0, 1, vcc_lo
	v_cmp_eq_u32_e32 vcc_lo, 0x40f, v16
	v_add_co_ci_u32_e64 v15, s1, s4, v15, s1
	v_fmac_f16_e32 v12, v142, v3
	v_and_or_b32 v5, 0xffe, v11, v5
	v_cndmask_b32_e32 v16, v25, v23, vcc_lo
	v_cmp_lt_i32_e32 vcc_lo, 5, v26
	v_lshrrev_b32_e32 v23, 2, v24
	v_sub_nc_u32_e32 v11, 0x3f1, v28
	v_or_b32_e32 v24, 0x1000, v5
	v_and_or_b32 v31, 0x8000, v17, v16
	s_or_b32 vcc_lo, s0, vcc_lo
	v_mul_f16_sdwa v3, v142, v3 dst_sel:DWORD dst_unused:UNUSED_PAD src0_sel:WORD_1 src1_sel:DWORD
	v_add_co_ci_u32_e32 v23, vcc_lo, 0, v23, vcc_lo
	v_med3_i32 v25, v11, 0, 13
	v_cmp_ne_u32_e32 vcc_lo, 0, v18
	v_cvt_f32_f16_e32 v11, v12
	v_and_or_b32 v20, 0x1ff, v21, v20
	v_lshrrev_b32_e32 v29, 8, v21
	v_lshrrev_b32_e32 v26, v25, v24
	v_cndmask_b32_e64 v18, 0, 1, vcc_lo
	v_cmp_gt_i32_e32 vcc_lo, 31, v8
	v_cvt_f64_f32_e32 v[11:12], v11
	v_bfe_u32 v30, v21, 20, 11
	v_lshlrev_b32_e32 v25, v25, v26
	v_lshl_or_b32 v18, v18, 9, 0x7c00
	v_cndmask_b32_e32 v23, 0x7c00, v23, vcc_lo
	v_cmp_ne_u32_e32 vcc_lo, 0, v20
	v_fma_f16 v3, v142, v27, -v3
	v_lshrrev_b32_e32 v6, 16, v6
	v_cndmask_b32_e64 v20, 0, 1, vcc_lo
	v_cmp_ne_u32_e32 vcc_lo, v25, v24
	v_add_nc_u32_e32 v24, 0xfffffc10, v28
	v_cvt_f32_f16_e32 v3, v3
	v_and_or_b32 v20, 0xffe, v29, v20
	v_cndmask_b32_e64 v16, 0, 1, vcc_lo
	v_cmp_eq_u32_e32 vcc_lo, 0x40f, v8
	v_cmp_eq_u32_e64 s1, 0x40f, v24
	v_or_b32_e32 v25, 0x1000, v20
	v_cndmask_b32_e32 v8, v23, v18, vcc_lo
	v_sub_nc_u32_e32 v18, 0x3f1, v30
	v_or_b32_e32 v23, v26, v16
	v_lshl_or_b32 v26, v24, 12, v5
	v_mul_f64 v[16:17], v[11:12], s[2:3]
	v_cmp_gt_i32_e32 vcc_lo, 1, v24
	v_med3_i32 v11, v18, 0, 13
	v_lshrrev_b32_e32 v12, 16, v19
	v_cvt_f64_f32_e32 v[18:19], v3
	v_add_nc_u32_e32 v3, 0xfffffc10, v30
	v_cndmask_b32_e32 v23, v26, v23, vcc_lo
	v_lshrrev_b32_e32 v26, v11, v25
	v_and_or_b32 v8, 0x8000, v12, v8
	v_and_b32_e32 v12, 0xffff, v31
	v_lshl_or_b32 v22, v3, 12, v20
	v_and_b32_e32 v27, 7, v23
	v_lshlrev_b32_e32 v11, v11, v26
	v_lshl_or_b32 v8, v8, 16, v12
	v_lshrrev_b32_e32 v12, 2, v23
	v_cmp_lt_i32_e32 vcc_lo, 5, v27
	v_cmp_ne_u32_e64 s0, v11, v25
	global_store_dword v[14:15], v8, off
	v_cndmask_b32_e64 v11, 0, 1, s0
	v_cmp_eq_u32_e64 s0, 3, v27
	v_and_or_b32 v16, 0x1ff, v17, v16
	v_lshrrev_b32_e32 v25, 8, v17
	v_mul_f64 v[18:19], v[18:19], s[2:3]
	v_or_b32_e32 v11, v26, v11
	s_or_b32 vcc_lo, s0, vcc_lo
	v_bfe_u32 v26, v17, 20, 11
	v_add_co_ci_u32_e32 v23, vcc_lo, 0, v12, vcc_lo
	v_cmp_gt_i32_e32 vcc_lo, 1, v3
	v_cndmask_b32_e32 v22, v22, v11, vcc_lo
	v_cmp_ne_u32_e32 vcc_lo, 0, v16
	ds_read2_b32 v[11:12], v155 offset0:40 offset1:175
	v_and_b32_e32 v27, 7, v22
	v_cndmask_b32_e64 v16, 0, 1, vcc_lo
	v_cmp_ne_u32_e32 vcc_lo, 0, v5
	v_lshrrev_b32_e32 v22, 2, v22
	v_cmp_eq_u32_e64 s0, 3, v27
	v_and_or_b32 v16, 0xffe, v25, v16
	v_cndmask_b32_e64 v5, 0, 1, vcc_lo
	v_cmp_gt_i32_e32 vcc_lo, 31, v24
	v_sub_nc_u32_e32 v25, 0x3f1, v26
	v_and_or_b32 v18, 0x1ff, v19, v18
	v_or_b32_e32 v28, 0x1000, v16
	v_lshl_or_b32 v5, v5, 9, 0x7c00
	v_cndmask_b32_e32 v23, 0x7c00, v23, vcc_lo
	v_cmp_lt_i32_e32 vcc_lo, 5, v27
	v_med3_i32 v25, v25, 0, 13
	v_add_nc_u32_e32 v26, 0xfffffc10, v26
	s_waitcnt lgkmcnt(0)
	v_lshrrev_b32_e32 v24, 16, v11
	v_cndmask_b32_e64 v5, v23, v5, s1
	s_or_b32 vcc_lo, s0, vcc_lo
	v_lshrrev_b32_e32 v27, v25, v28
	v_add_co_ci_u32_e32 v22, vcc_lo, 0, v22, vcc_lo
	v_cmp_ne_u32_e32 vcc_lo, 0, v20
	v_mul_f16_sdwa v23, v141, v24 dst_sel:DWORD dst_unused:UNUSED_PAD src0_sel:WORD_1 src1_sel:DWORD
	v_lshlrev_b32_e32 v25, v25, v27
	v_bfe_u32 v30, v19, 20, 11
	v_and_or_b32 v5, 0x8000, v6, v5
	v_cndmask_b32_e64 v20, 0, 1, vcc_lo
	v_cmp_gt_i32_e32 vcc_lo, 31, v3
	v_fmac_f16_e32 v23, v141, v11
	v_mul_f16_sdwa v11, v141, v11 dst_sel:DWORD dst_unused:UNUSED_PAD src0_sel:WORD_1 src1_sel:DWORD
	v_add_co_u32 v14, s1, v14, s5
	v_cndmask_b32_e32 v29, 0x7c00, v22, vcc_lo
	v_cmp_ne_u32_e32 vcc_lo, v25, v28
	v_cvt_f32_f16_e32 v22, v23
	v_lshl_or_b32 v20, v20, 9, 0x7c00
	v_lshrrev_b32_e32 v28, 8, v19
	v_fma_f16 v11, v141, v24, -v11
	v_cndmask_b32_e64 v25, 0, 1, vcc_lo
	v_cmp_ne_u32_e32 vcc_lo, 0, v18
	v_cvt_f64_f32_e32 v[22:23], v22
	v_add_co_ci_u32_e64 v15, s1, s4, v15, s1
	v_or_b32_e32 v25, v27, v25
	v_cndmask_b32_e64 v18, 0, 1, vcc_lo
	v_cmp_eq_u32_e32 vcc_lo, 0x40f, v3
	v_lshl_or_b32 v27, v26, 12, v16
	v_cvt_f32_f16_e32 v6, v11
	v_and_or_b32 v18, 0xffe, v28, v18
	v_cndmask_b32_e32 v3, v29, v20, vcc_lo
	v_cmp_gt_i32_e32 vcc_lo, 1, v26
	v_sub_nc_u32_e32 v28, 0x3f1, v30
	v_lshrrev_b32_e32 v29, 16, v21
	v_cndmask_b32_e32 v25, v27, v25, vcc_lo
	v_or_b32_e32 v27, 0x1000, v18
	v_med3_i32 v28, v28, 0, 13
	v_and_or_b32 v3, 0x8000, v29, v3
	v_and_b32_e32 v24, 7, v25
	v_mul_f64 v[20:21], v[22:23], s[2:3]
	v_lshrrev_b32_e32 v8, v28, v27
	v_lshrrev_b32_e32 v11, 2, v25
	v_cvt_f64_f32_e32 v[22:23], v6
	v_cmp_lt_i32_e32 vcc_lo, 5, v24
	v_cmp_eq_u32_e64 s0, 3, v24
	v_lshlrev_b32_e32 v6, v28, v8
	v_add_nc_u32_e32 v24, 0xfffffc10, v30
	v_and_b32_e32 v25, 0xffff, v5
	s_or_b32 vcc_lo, s0, vcc_lo
	v_add_co_ci_u32_e32 v11, vcc_lo, 0, v11, vcc_lo
	v_cmp_ne_u32_e32 vcc_lo, v6, v27
	v_lshl_or_b32 v27, v24, 12, v18
	v_lshl_or_b32 v3, v3, 16, v25
	v_cndmask_b32_e64 v6, 0, 1, vcc_lo
	v_cmp_ne_u32_e32 vcc_lo, 0, v16
	global_store_dword v[14:15], v3, off
	v_and_or_b32 v20, 0x1ff, v21, v20
	v_lshrrev_b32_e32 v25, 8, v21
	v_or_b32_e32 v8, v8, v6
	v_cndmask_b32_e64 v16, 0, 1, vcc_lo
	v_cmp_gt_i32_e32 vcc_lo, 31, v26
	ds_read2_b32 v[5:6], v150 offset0:54 offset1:189
	v_mul_f64 v[22:23], v[22:23], s[2:3]
	v_lshl_or_b32 v16, v16, 9, 0x7c00
	v_cndmask_b32_e32 v11, 0x7c00, v11, vcc_lo
	v_cmp_gt_i32_e32 vcc_lo, 1, v24
	v_cndmask_b32_e32 v8, v27, v8, vcc_lo
	v_cmp_ne_u32_e32 vcc_lo, 0, v20
	v_bfe_u32 v27, v21, 20, 11
	v_cndmask_b32_e64 v20, 0, 1, vcc_lo
	v_cmp_eq_u32_e32 vcc_lo, 0x40f, v26
	v_lshrrev_b32_e32 v26, 16, v17
	v_sub_nc_u32_e32 v17, 0x3f1, v27
	v_add_nc_u32_e32 v27, 0xfffffc10, v27
	v_and_or_b32 v20, 0xffe, v25, v20
	v_cndmask_b32_e32 v11, v11, v16, vcc_lo
	v_and_b32_e32 v16, 7, v8
	s_waitcnt lgkmcnt(0)
	v_lshrrev_b32_e32 v25, 16, v6
	v_lshrrev_b32_e32 v8, 2, v8
	v_or_b32_e32 v28, 0x1000, v20
	v_and_or_b32 v22, 0x1ff, v23, v22
	v_cmp_lt_i32_e32 vcc_lo, 5, v16
	v_cmp_eq_u32_e64 s0, 3, v16
	v_med3_i32 v16, v17, 0, 13
	v_mul_f16_sdwa v17, v139, v25 dst_sel:DWORD dst_unused:UNUSED_PAD src0_sel:WORD_1 src1_sel:DWORD
	v_lshrrev_b32_e32 v31, 8, v23
	v_bfe_u32 v32, v23, 20, 11
	s_or_b32 vcc_lo, s0, vcc_lo
	v_lshrrev_b32_e32 v29, v16, v28
	v_add_co_ci_u32_e32 v8, vcc_lo, 0, v8, vcc_lo
	v_cmp_ne_u32_e32 vcc_lo, 0, v18
	v_fmac_f16_e32 v17, v139, v6
	v_lshlrev_b32_e32 v30, v16, v29
	v_mul_f16_sdwa v6, v139, v6 dst_sel:DWORD dst_unused:UNUSED_PAD src0_sel:WORD_1 src1_sel:DWORD
	v_and_or_b32 v11, 0x8000, v26, v11
	v_cndmask_b32_e64 v18, 0, 1, vcc_lo
	v_cmp_ne_u32_e32 vcc_lo, 0, v22
	v_cvt_f32_f16_e32 v16, v17
	v_fma_f16 v6, v139, v25, -v6
	v_lshl_or_b32 v18, v18, 9, 0x7c00
	v_cndmask_b32_e64 v22, 0, 1, vcc_lo
	v_cmp_ne_u32_e32 vcc_lo, v30, v28
	v_cvt_f64_f32_e32 v[16:17], v16
	v_sub_nc_u32_e32 v30, 0x3f1, v32
	v_cvt_f32_f16_e32 v6, v6
	v_and_or_b32 v22, 0xffe, v31, v22
	v_cndmask_b32_e64 v28, 0, 1, vcc_lo
	v_cmp_gt_i32_e32 vcc_lo, 31, v24
	v_med3_i32 v30, v30, 0, 13
	v_or_b32_e32 v31, 0x1000, v22
	v_or_b32_e32 v28, v29, v28
	v_cndmask_b32_e32 v8, 0x7c00, v8, vcc_lo
	v_lshl_or_b32 v29, v27, 12, v20
	v_cmp_gt_i32_e32 vcc_lo, 1, v27
	v_cndmask_b32_e32 v28, v29, v28, vcc_lo
	v_cmp_eq_u32_e32 vcc_lo, 0x40f, v24
	v_lshrrev_b32_e32 v29, v30, v31
	v_and_b32_e32 v24, 7, v28
	v_cndmask_b32_e32 v8, v8, v18, vcc_lo
	v_lshrrev_b32_e32 v18, 16, v19
	v_mul_f64 v[16:17], v[16:17], s[2:3]
	v_lshlrev_b32_e32 v25, v30, v29
	v_cmp_lt_i32_e32 vcc_lo, 5, v24
	v_cmp_eq_u32_e64 s0, 3, v24
	v_and_or_b32 v8, 0x8000, v18, v8
	v_cvt_f64_f32_e32 v[18:19], v6
	v_and_b32_e32 v6, 0xffff, v11
	v_lshrrev_b32_e32 v11, 2, v28
	s_or_b32 vcc_lo, s0, vcc_lo
	v_cmp_ne_u32_e64 s1, v25, v31
	v_add_nc_u32_e32 v25, 0xfffffc10, v32
	v_lshl_or_b32 v6, v8, 16, v6
	v_add_co_ci_u32_e32 v11, vcc_lo, 0, v11, vcc_lo
	v_cmp_ne_u32_e32 vcc_lo, 0, v20
	v_cndmask_b32_e64 v24, 0, 1, s1
	v_lshrrev_b32_e32 v28, 16, v13
	v_cndmask_b32_e64 v3, 0, 1, vcc_lo
	v_cmp_gt_i32_e32 vcc_lo, 31, v27
	v_or_b32_e32 v20, v29, v24
	v_lshl_or_b32 v24, v25, 12, v22
	v_and_or_b32 v16, 0x1ff, v17, v16
	v_lshl_or_b32 v3, v3, 9, 0x7c00
	v_cndmask_b32_e32 v11, 0x7c00, v11, vcc_lo
	v_cmp_gt_i32_e32 vcc_lo, 1, v25
	v_mul_f64 v[18:19], v[18:19], s[2:3]
	v_lshrrev_b32_e32 v26, 8, v17
	v_cndmask_b32_e32 v8, v24, v20, vcc_lo
	v_cmp_eq_u32_e32 vcc_lo, 0x40f, v27
	v_bfe_u32 v27, v17, 20, 11
	v_and_b32_e32 v24, 7, v8
	v_cndmask_b32_e32 v3, v11, v3, vcc_lo
	v_cmp_ne_u32_e32 vcc_lo, 0, v16
	v_lshrrev_b32_e32 v11, 16, v21
	v_lshrrev_b32_e32 v8, 2, v8
	v_cmp_eq_u32_e64 s0, 3, v24
	v_cndmask_b32_e64 v16, 0, 1, vcc_lo
	v_add_co_u32 v20, vcc_lo, v14, s5
	v_add_co_ci_u32_e32 v21, vcc_lo, s4, v15, vcc_lo
	v_cmp_lt_i32_e32 vcc_lo, 5, v24
	v_and_or_b32 v16, 0xffe, v26, v16
	v_sub_nc_u32_e32 v15, 0x3f1, v27
	v_mul_f16_sdwa v14, v138, v28 dst_sel:DWORD dst_unused:UNUSED_PAD src0_sel:WORD_1 src1_sel:DWORD
	v_and_or_b32 v18, 0x1ff, v19, v18
	s_or_b32 vcc_lo, s0, vcc_lo
	v_or_b32_e32 v24, 0x1000, v16
	v_add_co_ci_u32_e32 v8, vcc_lo, 0, v8, vcc_lo
	v_med3_i32 v26, v15, 0, 13
	v_cmp_ne_u32_e32 vcc_lo, 0, v22
	v_fmac_f16_e32 v14, v138, v13
	v_lshrrev_b32_e32 v30, 8, v19
	v_bfe_u32 v31, v19, 20, 11
	v_lshrrev_b32_e32 v29, v26, v24
	v_cndmask_b32_e64 v22, 0, 1, vcc_lo
	v_cmp_ne_u32_e32 vcc_lo, 0, v18
	v_cvt_f32_f16_e32 v14, v14
	v_mul_f16_sdwa v13, v138, v13 dst_sel:DWORD dst_unused:UNUSED_PAD src0_sel:WORD_1 src1_sel:DWORD
	v_lshlrev_b32_e32 v26, v26, v29
	v_lshl_or_b32 v22, v22, 9, 0x7c00
	v_cndmask_b32_e64 v18, 0, 1, vcc_lo
	v_cmp_gt_i32_e32 vcc_lo, 31, v25
	v_cvt_f64_f32_e32 v[14:15], v14
	v_fma_f16 v13, v138, v28, -v13
	v_and_or_b32 v3, 0x8000, v11, v3
	v_and_or_b32 v18, 0xffe, v30, v18
	v_cndmask_b32_e32 v8, 0x7c00, v8, vcc_lo
	v_cmp_ne_u32_e32 vcc_lo, v26, v24
	v_sub_nc_u32_e32 v30, 0x3f1, v31
	v_add_nc_u32_e32 v26, 0xfffffc10, v27
	v_or_b32_e32 v27, 0x1000, v18
	v_cvt_f32_f16_e32 v13, v13
	v_cndmask_b32_e64 v24, 0, 1, vcc_lo
	v_med3_i32 v30, v30, 0, 13
	v_cmp_gt_i32_e32 vcc_lo, 1, v26
	v_and_b32_e32 v3, 0xffff, v3
	v_or_b32_e32 v24, v29, v24
	v_lshl_or_b32 v29, v26, 12, v16
	v_lshrrev_b32_e32 v32, v30, v27
	v_cndmask_b32_e32 v24, v29, v24, vcc_lo
	v_cmp_eq_u32_e32 vcc_lo, 0x40f, v25
	v_lshlrev_b32_e32 v28, v30, v32
	v_mul_f64 v[14:15], v[14:15], s[2:3]
	v_lshrrev_b32_e32 v25, 16, v23
	v_and_b32_e32 v11, 7, v24
	v_cndmask_b32_e32 v8, v8, v22, vcc_lo
	v_cmp_ne_u32_e64 s0, v28, v27
	v_cvt_f64_f32_e32 v[22:23], v13
	v_cmp_lt_i32_e32 vcc_lo, 5, v11
	v_and_or_b32 v8, 0x8000, v25, v8
	v_cndmask_b32_e64 v13, 0, 1, s0
	v_cmp_eq_u32_e64 s0, 3, v11
	v_add_nc_u32_e32 v25, 0xfffffc10, v31
	v_lshl_or_b32 v3, v8, 16, v3
	v_lshrrev_b32_e32 v8, 2, v24
	s_or_b32 vcc_lo, s0, vcc_lo
	v_or_b32_e32 v11, v32, v13
	v_lshl_or_b32 v13, v25, 12, v18
	v_add_co_ci_u32_e32 v8, vcc_lo, 0, v8, vcc_lo
	v_cmp_ne_u32_e32 vcc_lo, 0, v16
	v_and_or_b32 v24, 0x1ff, v15, v14
	v_lshrrev_b32_e32 v28, 8, v15
	v_bfe_u32 v29, v15, 20, 11
	v_cndmask_b32_e64 v14, 0, 1, vcc_lo
	v_cmp_gt_i32_e32 vcc_lo, 1, v25
	v_mul_f64 v[22:23], v[22:23], s[2:3]
	v_lshl_or_b32 v16, v14, 9, 0x7c00
	v_cndmask_b32_e32 v11, v13, v11, vcc_lo
	v_cmp_gt_i32_e32 vcc_lo, 31, v26
	ds_read2_b32 v[13:14], v146 offset0:28 offset1:163
	v_and_b32_e32 v27, 7, v11
	v_cndmask_b32_e32 v8, 0x7c00, v8, vcc_lo
	v_cmp_ne_u32_e32 vcc_lo, 0, v24
	v_lshrrev_b32_e32 v11, 2, v11
	v_cmp_eq_u32_e64 s0, 3, v27
	v_cndmask_b32_e64 v24, 0, 1, vcc_lo
	v_cmp_eq_u32_e32 vcc_lo, 0x40f, v26
	v_and_or_b32 v24, 0xffe, v28, v24
	v_cndmask_b32_e32 v8, v8, v16, vcc_lo
	v_cmp_lt_i32_e32 vcc_lo, 5, v27
	v_lshrrev_b32_e32 v16, 16, v17
	v_sub_nc_u32_e32 v17, 0x3f1, v29
	s_waitcnt lgkmcnt(0)
	v_lshrrev_b32_e32 v26, 16, v13
	v_and_or_b32 v22, 0x1ff, v23, v22
	s_or_b32 vcc_lo, s0, vcc_lo
	v_and_or_b32 v8, 0x8000, v16, v8
	v_add_co_ci_u32_e32 v11, vcc_lo, 0, v11, vcc_lo
	v_cmp_ne_u32_e32 vcc_lo, 0, v18
	v_or_b32_e32 v16, 0x1000, v24
	v_med3_i32 v17, v17, 0, 13
	v_mul_f16_sdwa v28, v136, v26 dst_sel:DWORD dst_unused:UNUSED_PAD src0_sel:WORD_1 src1_sel:DWORD
	v_lshrrev_b32_e32 v30, 8, v23
	v_cndmask_b32_e64 v18, 0, 1, vcc_lo
	v_cmp_gt_i32_e32 vcc_lo, 31, v25
	v_lshrrev_b32_e32 v27, v17, v16
	v_fmac_f16_e32 v28, v136, v13
	v_bfe_u32 v31, v23, 20, 11
	v_lshl_or_b32 v18, v18, 9, 0x7c00
	v_cndmask_b32_e32 v11, 0x7c00, v11, vcc_lo
	v_cmp_ne_u32_e32 vcc_lo, 0, v22
	v_lshlrev_b32_e32 v17, v17, v27
	v_cvt_f32_f16_e32 v28, v28
	v_mul_f16_sdwa v13, v136, v13 dst_sel:DWORD dst_unused:UNUSED_PAD src0_sel:WORD_1 src1_sel:DWORD
	v_and_b32_e32 v8, 0xffff, v8
	v_cndmask_b32_e64 v22, 0, 1, vcc_lo
	v_cmp_ne_u32_e32 vcc_lo, v17, v16
	v_cvt_f64_f32_e32 v[16:17], v28
	v_add_nc_u32_e32 v28, 0xfffffc10, v29
	v_and_or_b32 v22, 0xffe, v30, v22
	v_sub_nc_u32_e32 v30, 0x3f1, v31
	v_cndmask_b32_e64 v32, 0, 1, vcc_lo
	v_cmp_eq_u32_e32 vcc_lo, 0x40f, v25
	v_lshrrev_b32_e32 v25, 16, v19
	v_or_b32_e32 v33, 0x1000, v22
	v_med3_i32 v30, v30, 0, 13
	v_or_b32_e32 v27, v27, v32
	v_cndmask_b32_e32 v11, v11, v18, vcc_lo
	v_add_co_u32 v18, vcc_lo, v20, s5
	v_add_co_ci_u32_e32 v19, vcc_lo, s4, v21, vcc_lo
	v_lshrrev_b32_e32 v29, v30, v33
	v_lshl_or_b32 v32, v28, 12, v24
	v_cmp_gt_i32_e32 vcc_lo, 1, v28
	v_and_or_b32 v11, 0x8000, v25, v11
	global_store_dword v[20:21], v6, off
	global_store_dword v[18:19], v3, off
	v_lshlrev_b32_e32 v30, v30, v29
	v_fma_f16 v6, v136, v26, -v13
	v_cndmask_b32_e32 v25, v32, v27, vcc_lo
	v_mul_f64 v[16:17], v[16:17], s[2:3]
	v_add_nc_u32_e32 v26, 0xfffffc10, v31
	v_cmp_ne_u32_e32 vcc_lo, v30, v33
	v_cvt_f32_f16_e32 v6, v6
	v_and_b32_e32 v3, 7, v25
	v_cmp_gt_i32_e64 s1, 1, v26
	v_cndmask_b32_e64 v13, 0, 1, vcc_lo
	v_cvt_f64_f32_e32 v[20:21], v6
	v_cmp_lt_i32_e32 vcc_lo, 5, v3
	v_cmp_eq_u32_e64 s0, 3, v3
	v_lshl_or_b32 v6, v11, 16, v8
	v_lshrrev_b32_e32 v8, 2, v25
	v_or_b32_e32 v3, v29, v13
	v_lshl_or_b32 v13, v26, 12, v22
	s_or_b32 vcc_lo, s0, vcc_lo
	v_lshrrev_b32_e32 v25, 16, v10
	v_add_co_ci_u32_e32 v8, vcc_lo, 0, v8, vcc_lo
	v_cmp_ne_u32_e32 vcc_lo, 0, v24
	v_cndmask_b32_e64 v3, v13, v3, s1
	v_mul_f16_sdwa v27, v135, v25 dst_sel:DWORD dst_unused:UNUSED_PAD src0_sel:WORD_1 src1_sel:DWORD
	v_and_or_b32 v16, 0x1ff, v17, v16
	v_bfe_u32 v24, v17, 20, 11
	v_cndmask_b32_e64 v11, 0, 1, vcc_lo
	v_add_co_u32 v18, vcc_lo, v18, s5
	v_add_co_ci_u32_e32 v19, vcc_lo, s4, v19, vcc_lo
	v_and_b32_e32 v13, 7, v3
	v_cmp_gt_i32_e32 vcc_lo, 31, v28
	v_mul_f64 v[20:21], v[20:21], s[2:3]
	v_lshrrev_b32_e32 v3, 2, v3
	v_cmp_ne_u32_e64 s1, 0, v16
	v_cmp_eq_u32_e64 s0, 3, v13
	v_cndmask_b32_e32 v8, 0x7c00, v8, vcc_lo
	v_cmp_lt_i32_e32 vcc_lo, 5, v13
	v_lshrrev_b32_e32 v16, 8, v17
	v_cndmask_b32_e64 v13, 0, 1, s1
	v_lshl_or_b32 v11, v11, 9, 0x7c00
	v_fmac_f16_e32 v27, v135, v10
	s_or_b32 vcc_lo, s0, vcc_lo
	global_store_dword v[18:19], v6, off
	v_add_co_ci_u32_e32 v3, vcc_lo, 0, v3, vcc_lo
	v_cmp_ne_u32_e32 vcc_lo, 0, v22
	v_and_or_b32 v13, 0xffe, v16, v13
	v_sub_nc_u32_e32 v16, 0x3f1, v24
	v_cvt_f32_f16_e32 v27, v27
	v_add_nc_u32_e32 v24, 0xfffffc10, v24
	v_cndmask_b32_e64 v22, 0, 1, vcc_lo
	v_cmp_eq_u32_e32 vcc_lo, 0x40f, v28
	v_or_b32_e32 v29, 0x1000, v13
	v_med3_i32 v16, v16, 0, 13
	v_and_or_b32 v20, 0x1ff, v21, v20
	v_lshl_or_b32 v22, v22, 9, 0x7c00
	v_cndmask_b32_e32 v8, v8, v11, vcc_lo
	v_cmp_gt_i32_e32 vcc_lo, 31, v26
	v_lshrrev_b32_e32 v11, v16, v29
	v_lshrrev_b32_e32 v28, 16, v15
	v_bfe_u32 v6, v21, 20, 11
	v_mul_f16_sdwa v10, v135, v10 dst_sel:DWORD dst_unused:UNUSED_PAD src0_sel:WORD_1 src1_sel:DWORD
	v_cndmask_b32_e32 v3, 0x7c00, v3, vcc_lo
	v_cmp_eq_u32_e32 vcc_lo, 0x40f, v26
	v_lshlrev_b32_e32 v30, v16, v11
	v_cvt_f64_f32_e32 v[15:16], v27
	v_and_or_b32 v8, 0x8000, v28, v8
	v_fma_f16 v10, v135, v25, -v10
	v_cndmask_b32_e32 v3, v3, v22, vcc_lo
	v_cmp_ne_u32_e32 vcc_lo, 0, v20
	v_lshrrev_b32_e32 v22, 16, v23
	v_lshrrev_b32_e32 v23, 8, v21
	v_and_b32_e32 v8, 0xffff, v8
	s_mul_i32 s0, s9, 0xffffc928
	v_cndmask_b32_e64 v20, 0, 1, vcc_lo
	v_cmp_ne_u32_e32 vcc_lo, v30, v29
	v_and_or_b32 v3, 0x8000, v22, v3
	s_sub_i32 s6, s0, s8
	v_lshrrev_b32_e32 v17, 16, v17
	v_and_or_b32 v20, 0xffe, v23, v20
	v_cndmask_b32_e64 v26, 0, 1, vcc_lo
	v_sub_nc_u32_e32 v23, 0x3f1, v6
	v_cmp_gt_i32_e32 vcc_lo, 1, v24
	v_lshl_or_b32 v3, v3, 16, v8
	v_or_b32_e32 v27, 0x1000, v20
	v_or_b32_e32 v11, v11, v26
	v_lshl_or_b32 v26, v24, 12, v13
	v_med3_i32 v23, v23, 0, 13
	v_mul_f64 v[15:16], v[15:16], s[2:3]
	v_cvt_f32_f16_e32 v8, v10
	v_add_nc_u32_e32 v6, 0xfffffc10, v6
	v_cndmask_b32_e32 v25, v26, v11, vcc_lo
	v_lshrrev_b32_e32 v26, v23, v27
	ds_read2_b32 v[10:11], v143 offset0:70 offset1:205
	v_mad_u64_u32 v[18:19], null, 0xffffc928, s8, v[18:19]
	v_and_b32_e32 v28, 7, v25
	v_lshlrev_b32_e32 v29, v23, v26
	v_cvt_f64_f32_e32 v[22:23], v8
	v_lshrrev_b32_e32 v8, 2, v25
	v_lshrrev_b32_e32 v21, 16, v21
	v_cmp_lt_i32_e32 vcc_lo, 5, v28
	v_cmp_eq_u32_e64 s0, 3, v28
	v_cmp_ne_u32_e64 s1, v29, v27
	v_add_nc_u32_e32 v19, s6, v19
	s_or_b32 vcc_lo, s0, vcc_lo
	v_cndmask_b32_e64 v25, 0, 1, s1
	v_add_co_ci_u32_e32 v8, vcc_lo, 0, v8, vcc_lo
	v_cmp_ne_u32_e32 vcc_lo, 0, v13
	v_and_or_b32 v15, 0x1ff, v16, v15
	v_or_b32_e32 v25, v26, v25
	v_lshl_or_b32 v26, v6, 12, v20
	v_cmp_eq_u32_e64 s1, 0x40f, v24
	v_cndmask_b32_e64 v13, 0, 1, vcc_lo
	v_cmp_gt_i32_e32 vcc_lo, 1, v6
	v_lshrrev_b32_e32 v27, 8, v16
	v_bfe_u32 v28, v16, 20, 11
	v_mul_f64 v[22:23], v[22:23], s[2:3]
	v_lshl_or_b32 v13, v13, 9, 0x7c00
	v_cndmask_b32_e32 v25, v26, v25, vcc_lo
	v_cmp_ne_u32_e32 vcc_lo, 0, v15
	s_waitcnt lgkmcnt(0)
	v_lshrrev_b32_e32 v26, 16, v10
	global_store_dword v[18:19], v3, off
	v_and_b32_e32 v30, 7, v25
	v_cndmask_b32_e64 v15, 0, 1, vcc_lo
	v_cmp_gt_i32_e32 vcc_lo, 31, v24
	v_mul_f16_sdwa v29, v133, v26 dst_sel:DWORD dst_unused:UNUSED_PAD src0_sel:WORD_1 src1_sel:DWORD
	v_cmp_eq_u32_e64 s0, 3, v30
	v_and_or_b32 v15, 0xffe, v27, v15
	v_cndmask_b32_e32 v8, 0x7c00, v8, vcc_lo
	v_cmp_lt_i32_e32 vcc_lo, 5, v30
	v_sub_nc_u32_e32 v27, 0x3f1, v28
	v_fmac_f16_e32 v29, v133, v10
	v_or_b32_e32 v31, 0x1000, v15
	v_cndmask_b32_e64 v8, v8, v13, s1
	v_lshrrev_b32_e32 v13, 2, v25
	s_or_b32 vcc_lo, s0, vcc_lo
	v_med3_i32 v27, v27, 0, 13
	v_cvt_f32_f16_e32 v29, v29
	v_and_or_b32 v22, 0x1ff, v23, v22
	v_add_co_ci_u32_e32 v13, vcc_lo, 0, v13, vcc_lo
	v_cmp_ne_u32_e32 vcc_lo, 0, v20
	v_lshrrev_b32_e32 v30, v27, v31
	v_cvt_f64_f32_e32 v[24:25], v29
	v_lshrrev_b32_e32 v29, 8, v23
	v_bfe_u32 v32, v23, 20, 11
	v_cndmask_b32_e64 v20, 0, 1, vcc_lo
	v_cmp_gt_i32_e32 vcc_lo, 31, v6
	v_lshlrev_b32_e32 v27, v27, v30
	v_add_nc_u32_e32 v28, 0xfffffc10, v28
	v_mul_f16_sdwa v10, v133, v10 dst_sel:DWORD dst_unused:UNUSED_PAD src0_sel:WORD_1 src1_sel:DWORD
	v_lshl_or_b32 v20, v20, 9, 0x7c00
	v_cndmask_b32_e32 v13, 0x7c00, v13, vcc_lo
	v_cmp_ne_u32_e32 vcc_lo, 0, v22
	v_and_or_b32 v8, 0x8000, v17, v8
	v_fma_f16 v10, v133, v26, -v10
	v_cndmask_b32_e64 v22, 0, 1, vcc_lo
	v_cmp_ne_u32_e32 vcc_lo, v27, v31
	v_cvt_f32_f16_e32 v10, v10
	v_and_b32_e32 v8, 0xffff, v8
	v_and_or_b32 v22, 0xffe, v29, v22
	v_cndmask_b32_e64 v27, 0, 1, vcc_lo
	v_cmp_eq_u32_e32 vcc_lo, 0x40f, v6
	v_mul_f64 v[24:25], v[24:25], s[2:3]
	v_or_b32_e32 v29, 0x1000, v22
	v_cndmask_b32_e32 v6, v13, v20, vcc_lo
	v_sub_nc_u32_e32 v13, 0x3f1, v32
	v_or_b32_e32 v20, v30, v27
	v_lshl_or_b32 v27, v28, 12, v15
	v_cmp_gt_i32_e32 vcc_lo, 1, v28
	v_and_or_b32 v6, 0x8000, v21, v6
	v_med3_i32 v13, v13, 0, 13
	v_cndmask_b32_e32 v17, v27, v20, vcc_lo
	v_cvt_f64_f32_e32 v[20:21], v10
	v_lshrrev_b32_e32 v26, v13, v29
	v_lshl_or_b32 v3, v6, 16, v8
	v_add_nc_u32_e32 v8, 0xfffffc10, v32
	v_and_b32_e32 v27, 7, v17
	v_lshlrev_b32_e32 v13, v13, v26
	v_and_or_b32 v10, 0x1ff, v25, v24
	v_cmp_lt_i32_e32 vcc_lo, 5, v27
	v_lshrrev_b32_e32 v24, 8, v25
	v_cmp_ne_u32_e64 s0, v13, v29
	v_lshrrev_b32_e32 v13, 2, v17
	v_cmp_ne_u32_e64 s1, 0, v10
	v_lshl_or_b32 v17, v8, 12, v22
	v_cndmask_b32_e64 v6, 0, 1, s0
	v_cmp_eq_u32_e64 s0, 3, v27
	v_cndmask_b32_e64 v10, 0, 1, s1
	v_cmp_eq_u32_e64 s1, 0x40f, v28
	v_or_b32_e32 v6, v26, v6
	s_or_b32 vcc_lo, s0, vcc_lo
	v_bfe_u32 v26, v25, 20, 11
	v_add_co_ci_u32_e32 v13, vcc_lo, 0, v13, vcc_lo
	v_cmp_gt_i32_e32 vcc_lo, 1, v8
	v_and_or_b32 v10, 0xffe, v24, v10
	v_mul_f64 v[20:21], v[20:21], s[2:3]
	v_lshrrev_b32_e32 v25, 16, v25
	v_cndmask_b32_e32 v6, v17, v6, vcc_lo
	v_cmp_ne_u32_e32 vcc_lo, 0, v15
	v_sub_nc_u32_e32 v17, 0x3f1, v26
	v_or_b32_e32 v27, 0x1000, v10
	v_add_nc_u32_e32 v26, 0xfffffc10, v26
	v_and_b32_e32 v24, 7, v6
	v_cndmask_b32_e64 v15, 0, 1, vcc_lo
	v_cmp_gt_i32_e32 vcc_lo, 31, v28
	v_med3_i32 v17, v17, 0, 13
	v_lshrrev_b32_e32 v6, 2, v6
	v_cmp_eq_u32_e64 s0, 3, v24
	v_lshl_or_b32 v15, v15, 9, 0x7c00
	v_cndmask_b32_e32 v13, 0x7c00, v13, vcc_lo
	v_cmp_lt_i32_e32 vcc_lo, 5, v24
	v_lshrrev_b32_e32 v29, v17, v27
	v_lshrrev_b32_e32 v28, 16, v16
	v_lshl_or_b32 v30, v26, 12, v10
	v_cndmask_b32_e64 v13, v13, v15, s1
	s_or_b32 vcc_lo, s0, vcc_lo
	v_lshlrev_b32_e32 v15, v17, v29
	v_add_co_ci_u32_e32 v6, vcc_lo, 0, v6, vcc_lo
	v_lshrrev_b32_e32 v17, 16, v7
	v_cmp_ne_u32_e32 vcc_lo, 0, v22
	v_and_or_b32 v16, 0x1ff, v21, v20
	v_and_or_b32 v13, 0x8000, v28, v13
	v_mul_f16_sdwa v24, v132, v17 dst_sel:DWORD dst_unused:UNUSED_PAD src0_sel:WORD_1 src1_sel:DWORD
	v_cndmask_b32_e64 v22, 0, 1, vcc_lo
	v_cmp_gt_i32_e32 vcc_lo, 31, v8
	v_and_b32_e32 v13, 0xffff, v13
	v_fmac_f16_e32 v24, v132, v7
	v_mul_f16_sdwa v7, v132, v7 dst_sel:DWORD dst_unused:UNUSED_PAD src0_sel:WORD_1 src1_sel:DWORD
	v_cndmask_b32_e32 v6, 0x7c00, v6, vcc_lo
	v_cmp_ne_u32_e32 vcc_lo, v15, v27
	v_bfe_u32 v27, v21, 20, 11
	v_lshl_or_b32 v22, v22, 9, 0x7c00
	v_fma_f16 v7, v132, v17, -v7
	v_cndmask_b32_e64 v15, 0, 1, vcc_lo
	v_cmp_ne_u32_e32 vcc_lo, 0, v16
	v_cvt_f32_f16_e32 v16, v24
	v_lshrrev_b32_e32 v24, 8, v21
	v_cvt_f32_f16_e32 v7, v7
	v_or_b32_e32 v29, v29, v15
	v_cndmask_b32_e64 v20, 0, 1, vcc_lo
	v_cvt_f64_f32_e32 v[15:16], v16
	v_cmp_gt_i32_e32 vcc_lo, 1, v26
	v_lshrrev_b32_e32 v21, 16, v21
	v_and_or_b32 v24, 0xffe, v24, v20
	v_sub_nc_u32_e32 v20, 0x3f1, v27
	v_cndmask_b32_e32 v29, v30, v29, vcc_lo
	v_cmp_eq_u32_e32 vcc_lo, 0x40f, v8
	v_lshrrev_b32_e32 v8, 16, v23
	v_or_b32_e32 v30, 0x1000, v24
	v_med3_i32 v20, v20, 0, 13
	v_add_nc_u32_e32 v27, 0xfffffc10, v27
	v_cndmask_b32_e32 v6, v6, v22, vcc_lo
	v_and_b32_e32 v22, 7, v29
	v_add_co_u32 v17, vcc_lo, v18, s5
	v_lshrrev_b32_e32 v23, v20, v30
	v_add_co_ci_u32_e32 v18, vcc_lo, s4, v19, vcc_lo
	v_cmp_lt_i32_e32 vcc_lo, 5, v22
	v_cmp_eq_u32_e64 s0, 3, v22
	v_and_or_b32 v6, 0x8000, v8, v6
	v_mul_f64 v[15:16], v[15:16], s[2:3]
	v_lshlrev_b32_e32 v8, v20, v23
	v_cvt_f64_f32_e32 v[19:20], v7
	v_lshrrev_b32_e32 v7, 2, v29
	s_or_b32 vcc_lo, s0, vcc_lo
	v_lshl_or_b32 v28, v27, 12, v24
	v_cmp_ne_u32_e64 s1, v8, v30
	v_lshl_or_b32 v6, v6, 16, v13
	v_add_co_ci_u32_e32 v22, vcc_lo, 0, v7, vcc_lo
	v_cmp_ne_u32_e32 vcc_lo, 0, v10
	v_cndmask_b32_e64 v8, 0, 1, s1
	global_store_dword v[17:18], v3, off
	v_cndmask_b32_e64 v10, 0, 1, vcc_lo
	v_cmp_gt_i32_e32 vcc_lo, 31, v26
	v_or_b32_e32 v23, v23, v8
	ds_read2_b32 v[7:8], v140 offset0:112 offset1:247
	v_lshl_or_b32 v10, v10, 9, 0x7c00
	v_cndmask_b32_e32 v22, 0x7c00, v22, vcc_lo
	v_cmp_gt_i32_e32 vcc_lo, 1, v27
	v_and_or_b32 v13, 0x1ff, v16, v15
	v_mul_f64 v[19:20], v[19:20], s[2:3]
	v_cndmask_b32_e32 v23, v28, v23, vcc_lo
	v_cmp_eq_u32_e32 vcc_lo, 0x40f, v26
	v_bfe_u32 v26, v16, 20, 11
	v_and_b32_e32 v15, 7, v23
	v_cndmask_b32_e32 v10, v22, v10, vcc_lo
	v_cmp_ne_u32_e32 vcc_lo, 0, v13
	v_lshrrev_b32_e32 v22, 8, v16
	v_cmp_eq_u32_e64 s0, 3, v15
	v_and_or_b32 v10, 0x8000, v25, v10
	v_cndmask_b32_e64 v13, 0, 1, vcc_lo
	v_cmp_lt_i32_e32 vcc_lo, 5, v15
	v_sub_nc_u32_e32 v15, 0x3f1, v26
	s_waitcnt lgkmcnt(0)
	v_lshrrev_b32_e32 v28, 16, v7
	v_add_nc_u32_e32 v26, 0xfffffc10, v26
	v_and_or_b32 v13, 0xffe, v22, v13
	v_lshrrev_b32_e32 v22, 2, v23
	s_or_b32 vcc_lo, s0, vcc_lo
	v_med3_i32 v15, v15, 0, 13
	v_and_or_b32 v19, 0x1ff, v20, v19
	v_or_b32_e32 v25, 0x1000, v13
	v_add_co_ci_u32_e32 v22, vcc_lo, 0, v22, vcc_lo
	v_cmp_ne_u32_e32 vcc_lo, 0, v24
	v_mul_f16_sdwa v23, v131, v28 dst_sel:DWORD dst_unused:UNUSED_PAD src0_sel:WORD_1 src1_sel:DWORD
	v_lshrrev_b32_e32 v29, v15, v25
	v_bfe_u32 v32, v20, 20, 11
	v_lshrrev_b32_e32 v31, 8, v20
	v_cndmask_b32_e64 v24, 0, 1, vcc_lo
	v_cmp_gt_i32_e32 vcc_lo, 31, v27
	v_lshlrev_b32_e32 v15, v15, v29
	v_fmac_f16_e32 v23, v131, v7
	v_and_b32_e32 v10, 0xffff, v10
	v_lshl_or_b32 v24, v24, 9, 0x7c00
	v_cndmask_b32_e32 v30, 0x7c00, v22, vcc_lo
	v_cmp_ne_u32_e32 vcc_lo, 0, v19
	v_cvt_f32_f16_e32 v22, v23
	v_mul_f16_sdwa v7, v131, v7 dst_sel:DWORD dst_unused:UNUSED_PAD src0_sel:WORD_1 src1_sel:DWORD
	v_lshrrev_b32_e32 v20, 16, v20
	v_cndmask_b32_e64 v19, 0, 1, vcc_lo
	v_cmp_eq_u32_e32 vcc_lo, 0x40f, v27
	v_cvt_f64_f32_e32 v[22:23], v22
	v_fma_f16 v7, v131, v28, -v7
	v_add_nc_u32_e32 v28, 0xfffffc10, v32
	v_and_or_b32 v19, 0xffe, v31, v19
	v_cndmask_b32_e32 v27, v30, v24, vcc_lo
	v_cmp_ne_u32_e32 vcc_lo, v15, v25
	v_sub_nc_u32_e32 v24, 0x3f1, v32
	v_or_b32_e32 v30, 0x1000, v19
	v_and_or_b32 v27, 0x8000, v21, v27
	v_cndmask_b32_e64 v15, 0, 1, vcc_lo
	v_med3_i32 v31, v24, 0, 13
	v_add_co_u32 v24, vcc_lo, v17, s5
	v_add_co_ci_u32_e32 v25, vcc_lo, s4, v18, vcc_lo
	v_or_b32_e32 v15, v29, v15
	v_lshl_or_b32 v29, v26, 12, v13
	v_cmp_gt_i32_e32 vcc_lo, 1, v26
	v_lshl_or_b32 v27, v27, 16, v10
	global_store_dword v[24:25], v6, off
	v_cvt_f32_f16_e32 v6, v7
	v_mul_f64 v[21:22], v[22:23], s[2:3]
	v_cndmask_b32_e32 v15, v29, v15, vcc_lo
	v_lshrrev_b32_e32 v29, v31, v30
	v_cvt_f64_f32_e32 v[6:7], v6
	v_and_b32_e32 v3, 7, v15
	v_lshlrev_b32_e32 v17, v31, v29
	v_cmp_lt_i32_e32 vcc_lo, 5, v3
	v_cmp_ne_u32_e64 s0, v17, v30
	v_lshrrev_b32_e32 v30, 16, v9
	v_cndmask_b32_e64 v10, 0, 1, s0
	v_cmp_eq_u32_e64 s0, 3, v3
	v_lshrrev_b32_e32 v3, 2, v15
	v_lshl_or_b32 v15, v28, 12, v19
	v_or_b32_e32 v10, v29, v10
	s_or_b32 vcc_lo, s0, vcc_lo
	v_and_or_b32 v21, 0x1ff, v22, v21
	v_add_co_ci_u32_e32 v3, vcc_lo, 0, v3, vcc_lo
	v_cmp_ne_u32_e32 vcc_lo, 0, v13
	v_bfe_u32 v29, v22, 20, 11
	v_cndmask_b32_e64 v13, 0, 1, vcc_lo
	v_cmp_gt_i32_e32 vcc_lo, 1, v28
	v_lshl_or_b32 v13, v13, 9, 0x7c00
	v_cndmask_b32_e32 v10, v15, v10, vcc_lo
	v_add_co_u32 v17, vcc_lo, v24, s5
	v_add_co_ci_u32_e32 v18, vcc_lo, s4, v25, vcc_lo
	v_cmp_gt_i32_e32 vcc_lo, 31, v26
	v_and_b32_e32 v15, 7, v10
	v_mul_f64 v[23:24], v[6:7], s[2:3]
	v_lshrrev_b32_e32 v25, 8, v22
	v_sub_nc_u32_e32 v6, 0x3f1, v29
	v_cndmask_b32_e32 v3, 0x7c00, v3, vcc_lo
	v_cmp_ne_u32_e32 vcc_lo, 0, v21
	v_cmp_eq_u32_e64 s0, 3, v15
	v_lshrrev_b32_e32 v10, 2, v10
	v_mul_f16_sdwa v7, v130, v30 dst_sel:DWORD dst_unused:UNUSED_PAD src0_sel:WORD_1 src1_sel:DWORD
	global_store_dword v[17:18], v27, off
	v_cndmask_b32_e64 v21, 0, 1, vcc_lo
	v_cmp_eq_u32_e32 vcc_lo, 0x40f, v26
	v_lshrrev_b32_e32 v22, 16, v22
	v_fmac_f16_e32 v7, v130, v9
	v_cndmask_b32_e32 v3, v3, v13, vcc_lo
	v_cmp_lt_i32_e32 vcc_lo, 5, v15
	v_and_or_b32 v13, 0xffe, v25, v21
	v_med3_i32 v21, v6, 0, 13
	v_cvt_f32_f16_e32 v7, v7
	s_or_b32 vcc_lo, s0, vcc_lo
	v_or_b32_e32 v15, 0x1000, v13
	v_add_co_ci_u32_e32 v6, vcc_lo, 0, v10, vcc_lo
	v_cmp_ne_u32_e32 vcc_lo, 0, v19
	v_lshrrev_b32_e32 v10, 16, v16
	v_lshrrev_b32_e32 v19, v21, v15
	v_and_or_b32 v23, 0x1ff, v24, v23
	v_cndmask_b32_e64 v16, 0, 1, vcc_lo
	v_cmp_gt_i32_e32 vcc_lo, 31, v28
	v_lshlrev_b32_e32 v21, v21, v19
	v_and_or_b32 v3, 0x8000, v10, v3
	v_lshl_or_b32 v16, v16, 9, 0x7c00
	v_cndmask_b32_e32 v25, 0x7c00, v6, vcc_lo
	v_cmp_eq_u32_e32 vcc_lo, 0x40f, v28
	v_cvt_f64_f32_e32 v[6:7], v7
	v_mul_f16_sdwa v28, v130, v9 dst_sel:DWORD dst_unused:UNUSED_PAD src0_sel:WORD_1 src1_sel:DWORD
	v_and_b32_e32 v3, 0xffff, v3
	v_cndmask_b32_e32 v16, v25, v16, vcc_lo
	v_cmp_ne_u32_e32 vcc_lo, 0, v23
	v_lshrrev_b32_e32 v23, 8, v24
	v_bfe_u32 v25, v24, 20, 11
	v_lshrrev_b32_e32 v24, 16, v24
	v_cndmask_b32_e64 v10, 0, 1, vcc_lo
	v_cmp_ne_u32_e32 vcc_lo, v21, v15
	v_add_nc_u32_e32 v21, 0xfffffc10, v29
	v_and_or_b32 v23, 0xffe, v23, v10
	v_cndmask_b32_e64 v15, 0, 1, vcc_lo
	v_sub_nc_u32_e32 v10, 0x3f1, v25
	v_cmp_gt_i32_e32 vcc_lo, 1, v21
	v_add_nc_u32_e32 v25, 0xfffffc10, v25
	v_or_b32_e32 v26, 0x1000, v23
	v_or_b32_e32 v15, v19, v15
	v_lshl_or_b32 v19, v21, 12, v13
	v_med3_i32 v29, v10, 0, 13
	v_mul_f64 v[9:10], v[6:7], s[2:3]
	v_fma_f16 v7, v130, v30, -v28
	v_cndmask_b32_e32 v6, v19, v15, vcc_lo
	v_and_or_b32 v15, 0x8000, v20, v16
	v_lshrrev_b32_e32 v19, v29, v26
	v_cvt_f32_f16_e32 v7, v7
	v_and_b32_e32 v20, 7, v6
	v_lshl_or_b32 v3, v15, 16, v3
	v_lshlrev_b32_e32 v27, v29, v19
	v_cvt_f64_f32_e32 v[15:16], v7
	v_cmp_lt_i32_e32 vcc_lo, 5, v20
	v_cmp_eq_u32_e64 s0, 3, v20
	v_lshrrev_b32_e32 v20, 2, v6
	ds_read2_b32 v[6:7], v137 offset0:26 offset1:161
	v_cmp_ne_u32_e64 s1, v27, v26
	s_or_b32 vcc_lo, s0, vcc_lo
	v_add_co_ci_u32_e32 v20, vcc_lo, 0, v20, vcc_lo
	v_add_co_u32 v17, vcc_lo, v17, s5
	v_add_co_ci_u32_e32 v18, vcc_lo, s4, v18, vcc_lo
	v_cndmask_b32_e64 v26, 0, 1, s1
	v_cmp_ne_u32_e32 vcc_lo, 0, v13
	v_and_or_b32 v9, 0x1ff, v10, v9
	v_lshrrev_b32_e32 v27, 8, v10
	v_bfe_u32 v28, v10, 20, 11
	v_or_b32_e32 v19, v19, v26
	v_lshl_or_b32 v26, v25, 12, v23
	v_cndmask_b32_e64 v13, 0, 1, vcc_lo
	v_cmp_gt_i32_e32 vcc_lo, 1, v25
	v_mul_f64 v[15:16], v[15:16], s[2:3]
	v_cmp_eq_u32_e64 s1, 0x40f, v21
	global_store_dword v[17:18], v3, off
	v_lshl_or_b32 v13, v13, 9, 0x7c00
	v_cndmask_b32_e32 v19, v26, v19, vcc_lo
	v_cmp_ne_u32_e32 vcc_lo, 0, v9
	s_waitcnt lgkmcnt(0)
	v_lshrrev_b32_e32 v26, 16, v6
	v_and_b32_e32 v30, 7, v19
	v_cndmask_b32_e64 v9, 0, 1, vcc_lo
	v_cmp_gt_i32_e32 vcc_lo, 31, v21
	v_mul_f16_sdwa v29, v129, v26 dst_sel:DWORD dst_unused:UNUSED_PAD src0_sel:WORD_1 src1_sel:DWORD
	v_lshrrev_b32_e32 v21, 2, v19
	v_cmp_eq_u32_e64 s0, 3, v30
	v_and_or_b32 v9, 0xffe, v27, v9
	v_cndmask_b32_e32 v20, 0x7c00, v20, vcc_lo
	v_cmp_lt_i32_e32 vcc_lo, 5, v30
	v_sub_nc_u32_e32 v27, 0x3f1, v28
	v_fmac_f16_e32 v29, v129, v6
	v_or_b32_e32 v31, 0x1000, v9
	v_cndmask_b32_e64 v13, v20, v13, s1
	s_or_b32 vcc_lo, s0, vcc_lo
	v_med3_i32 v27, v27, 0, 13
	v_add_co_ci_u32_e32 v21, vcc_lo, 0, v21, vcc_lo
	v_cmp_ne_u32_e32 vcc_lo, 0, v23
	v_cvt_f32_f16_e32 v29, v29
	v_lshrrev_b32_e32 v30, v27, v31
	v_and_or_b32 v15, 0x1ff, v16, v15
	v_bfe_u32 v32, v16, 20, 11
	v_cndmask_b32_e64 v23, 0, 1, vcc_lo
	v_cmp_gt_i32_e32 vcc_lo, 31, v25
	v_cvt_f64_f32_e32 v[19:20], v29
	v_lshlrev_b32_e32 v27, v27, v30
	v_lshrrev_b32_e32 v29, 8, v16
	v_lshl_or_b32 v23, v23, 9, 0x7c00
	v_cndmask_b32_e32 v21, 0x7c00, v21, vcc_lo
	v_cmp_ne_u32_e32 vcc_lo, 0, v15
	v_add_nc_u32_e32 v28, 0xfffffc10, v28
	v_mul_f16_sdwa v6, v129, v6 dst_sel:DWORD dst_unused:UNUSED_PAD src0_sel:WORD_1 src1_sel:DWORD
	v_and_or_b32 v13, 0x8000, v22, v13
	v_cndmask_b32_e64 v15, 0, 1, vcc_lo
	v_cmp_ne_u32_e32 vcc_lo, v27, v31
	v_fma_f16 v6, v129, v26, -v6
	v_and_b32_e32 v13, 0xffff, v13
	v_and_or_b32 v15, 0xffe, v29, v15
	v_cndmask_b32_e64 v27, 0, 1, vcc_lo
	v_cmp_eq_u32_e32 vcc_lo, 0x40f, v25
	v_cvt_f32_f16_e32 v6, v6
	v_or_b32_e32 v29, 0x1000, v15
	v_or_b32_e32 v25, v30, v27
	v_cndmask_b32_e32 v21, v21, v23, vcc_lo
	v_sub_nc_u32_e32 v23, 0x3f1, v32
	v_mul_f64 v[19:20], v[19:20], s[2:3]
	v_lshl_or_b32 v27, v28, 12, v9
	v_cmp_gt_i32_e32 vcc_lo, 1, v28
	v_and_or_b32 v21, 0x8000, v24, v21
	v_med3_i32 v23, v23, 0, 13
	v_cndmask_b32_e32 v25, v27, v25, vcc_lo
	v_lshl_or_b32 v3, v21, 16, v13
	v_lshrrev_b32_e32 v26, v23, v29
	v_cvt_f64_f32_e32 v[21:22], v6
	v_add_nc_u32_e32 v13, 0xfffffc10, v32
	v_and_b32_e32 v24, 7, v25
	v_lshlrev_b32_e32 v23, v23, v26
	v_cmp_lt_i32_e32 vcc_lo, 5, v24
	v_cmp_ne_u32_e64 s0, v23, v29
	v_lshrrev_b32_e32 v23, 2, v25
	v_and_or_b32 v19, 0x1ff, v20, v19
	v_lshrrev_b32_e32 v25, 8, v20
	v_cndmask_b32_e64 v6, 0, 1, s0
	v_cmp_eq_u32_e64 s0, 3, v24
	v_lshl_or_b32 v24, v13, 12, v15
	v_cmp_ne_u32_e64 s1, 0, v19
	v_or_b32_e32 v6, v26, v6
	s_or_b32 vcc_lo, s0, vcc_lo
	v_bfe_u32 v26, v20, 20, 11
	v_add_co_ci_u32_e32 v23, vcc_lo, 0, v23, vcc_lo
	v_cmp_gt_i32_e32 vcc_lo, 1, v13
	v_cndmask_b32_e64 v19, 0, 1, s1
	v_mul_f64 v[21:22], v[21:22], s[2:3]
	v_cmp_eq_u32_e64 s1, 0x40f, v28
	v_cndmask_b32_e32 v6, v24, v6, vcc_lo
	v_cmp_ne_u32_e32 vcc_lo, 0, v9
	v_and_or_b32 v19, 0xffe, v25, v19
	v_sub_nc_u32_e32 v24, 0x3f1, v26
	v_and_b32_e32 v25, 7, v6
	v_cndmask_b32_e64 v9, 0, 1, vcc_lo
	v_cmp_gt_i32_e32 vcc_lo, 31, v28
	v_or_b32_e32 v27, 0x1000, v19
	v_med3_i32 v24, v24, 0, 13
	v_cmp_eq_u32_e64 s0, 3, v25
	v_lshrrev_b32_e32 v6, 2, v6
	v_cndmask_b32_e32 v23, 0x7c00, v23, vcc_lo
	v_cmp_lt_i32_e32 vcc_lo, 5, v25
	v_lshl_or_b32 v9, v9, 9, 0x7c00
	v_lshrrev_b32_e32 v29, v24, v27
	v_lshrrev_b32_e32 v28, 16, v10
	s_or_b32 vcc_lo, s0, vcc_lo
	v_cndmask_b32_e64 v23, v23, v9, s1
	v_add_co_ci_u32_e32 v6, vcc_lo, 0, v6, vcc_lo
	v_lshlrev_b32_e32 v9, v24, v29
	v_lshrrev_b32_e32 v24, 16, v12
	v_cmp_ne_u32_e32 vcc_lo, 0, v15
	v_and_or_b32 v10, 0x1ff, v22, v21
	v_add_nc_u32_e32 v21, 0xfffffc10, v26
	v_and_or_b32 v23, 0x8000, v28, v23
	v_mul_f16_sdwa v25, v128, v24 dst_sel:DWORD dst_unused:UNUSED_PAD src0_sel:WORD_1 src1_sel:DWORD
	v_cndmask_b32_e64 v15, 0, 1, vcc_lo
	v_cmp_gt_i32_e32 vcc_lo, 31, v13
	v_lshl_or_b32 v30, v21, 12, v19
	v_and_b32_e32 v23, 0xffff, v23
	v_fmac_f16_e32 v25, v128, v12
	v_lshl_or_b32 v15, v15, 9, 0x7c00
	v_cndmask_b32_e32 v6, 0x7c00, v6, vcc_lo
	v_cmp_ne_u32_e32 vcc_lo, v9, v27
	v_bfe_u32 v27, v22, 20, 11
	v_mul_f16_sdwa v12, v128, v12 dst_sel:DWORD dst_unused:UNUSED_PAD src0_sel:WORD_1 src1_sel:DWORD
	v_cndmask_b32_e64 v9, 0, 1, vcc_lo
	v_cmp_ne_u32_e32 vcc_lo, 0, v10
	v_cvt_f32_f16_e32 v10, v25
	v_lshrrev_b32_e32 v25, 8, v22
	v_lshrrev_b32_e32 v22, 16, v22
	v_or_b32_e32 v29, v29, v9
	v_cndmask_b32_e64 v26, 0, 1, vcc_lo
	v_cvt_f64_f32_e32 v[9:10], v10
	v_cmp_gt_i32_e32 vcc_lo, 1, v21
	v_and_or_b32 v25, 0xffe, v25, v26
	v_sub_nc_u32_e32 v26, 0x3f1, v27
	v_cndmask_b32_e32 v29, v30, v29, vcc_lo
	v_cmp_eq_u32_e32 vcc_lo, 0x40f, v13
	v_or_b32_e32 v30, 0x1000, v25
	v_med3_i32 v26, v26, 0, 13
	v_and_b32_e32 v31, 7, v29
	v_cndmask_b32_e32 v6, v6, v15, vcc_lo
	v_lshrrev_b32_e32 v15, 16, v16
	v_fma_f16 v16, v128, v24, -v12
	v_add_co_u32 v12, vcc_lo, v17, s5
	v_lshrrev_b32_e32 v32, v26, v30
	v_add_co_ci_u32_e32 v13, vcc_lo, s4, v18, vcc_lo
	v_cvt_f32_f16_e32 v17, v16
	v_and_or_b32 v6, 0x8000, v15, v6
	v_lshlrev_b32_e32 v24, v26, v32
	v_mul_f64 v[15:16], v[9:10], s[2:3]
	v_cmp_lt_i32_e32 vcc_lo, 5, v31
	v_cvt_f64_f32_e32 v[17:18], v17
	v_cmp_eq_u32_e64 s0, 3, v31
	v_lshrrev_b32_e32 v9, 2, v29
	v_cmp_ne_u32_e64 s1, v24, v30
	v_add_nc_u32_e32 v26, 0xfffffc10, v27
	v_lshl_or_b32 v6, v6, 16, v23
	s_or_b32 vcc_lo, s0, vcc_lo
	v_add_co_ci_u32_e32 v24, vcc_lo, 0, v9, vcc_lo
	v_cndmask_b32_e64 v10, 0, 1, s1
	v_cmp_ne_u32_e32 vcc_lo, 0, v19
	v_lshl_or_b32 v28, v26, 12, v25
	v_or_b32_e32 v27, v32, v10
	v_cndmask_b32_e64 v19, 0, 1, vcc_lo
	v_cmp_gt_i32_e32 vcc_lo, 1, v26
	ds_read2_b32 v[9:10], v134 offset0:68 offset1:203
	v_and_or_b32 v15, 0x1ff, v16, v15
	v_lshl_or_b32 v19, v19, 9, 0x7c00
	v_cndmask_b32_e32 v27, v28, v27, vcc_lo
	v_cmp_gt_i32_e32 vcc_lo, 31, v21
	v_mul_f64 v[17:18], v[17:18], s[2:3]
	v_cmp_ne_u32_e64 s1, 0, v15
	v_bfe_u32 v29, v16, 20, 11
	v_and_b32_e32 v23, 7, v27
	v_cndmask_b32_e32 v24, 0x7c00, v24, vcc_lo
	v_cmp_eq_u32_e32 vcc_lo, 0x40f, v21
	v_cndmask_b32_e64 v15, 0, 1, s1
	v_lshrrev_b32_e32 v28, 16, v20
	v_cmp_eq_u32_e64 s0, 3, v23
	v_cndmask_b32_e32 v21, v24, v19, vcc_lo
	v_cmp_lt_i32_e32 vcc_lo, 5, v23
	v_lshrrev_b32_e32 v24, 2, v27
	v_lshrrev_b32_e32 v23, 8, v16
	s_waitcnt lgkmcnt(0)
	v_lshrrev_b32_e32 v30, 16, v9
	v_and_or_b32 v21, 0x8000, v28, v21
	s_or_b32 vcc_lo, s0, vcc_lo
	v_add_co_u32 v19, s1, v12, s5
	v_add_co_ci_u32_e32 v24, vcc_lo, 0, v24, vcc_lo
	v_and_or_b32 v15, 0xffe, v23, v15
	v_sub_nc_u32_e32 v23, 0x3f1, v29
	v_cmp_ne_u32_e32 vcc_lo, 0, v25
	v_mul_f16_sdwa v27, v127, v30 dst_sel:DWORD dst_unused:UNUSED_PAD src0_sel:WORD_1 src1_sel:DWORD
	v_and_or_b32 v17, 0x1ff, v18, v17
	v_or_b32_e32 v31, 0x1000, v15
	v_med3_i32 v23, v23, 0, 13
	v_cndmask_b32_e64 v25, 0, 1, vcc_lo
	v_cmp_gt_i32_e32 vcc_lo, 31, v26
	v_fmac_f16_e32 v27, v127, v9
	v_lshrrev_b32_e32 v34, 8, v18
	v_lshrrev_b32_e32 v32, v23, v31
	v_lshl_or_b32 v25, v25, 9, 0x7c00
	v_cndmask_b32_e32 v33, 0x7c00, v24, vcc_lo
	v_cmp_ne_u32_e32 vcc_lo, 0, v17
	v_cvt_f32_f16_e32 v24, v27
	v_lshlrev_b32_e32 v27, v23, v32
	v_bfe_u32 v35, v18, 20, 11
	v_mul_f16_sdwa v9, v127, v9 dst_sel:DWORD dst_unused:UNUSED_PAD src0_sel:WORD_1 src1_sel:DWORD
	v_cndmask_b32_e64 v17, 0, 1, vcc_lo
	v_cmp_eq_u32_e32 vcc_lo, 0x40f, v26
	v_cvt_f64_f32_e32 v[23:24], v24
	v_sub_nc_u32_e32 v28, 0x3f1, v35
	v_fma_f16 v9, v127, v30, -v9
	v_and_or_b32 v17, 0xffe, v34, v17
	v_cndmask_b32_e32 v25, v33, v25, vcc_lo
	v_cmp_ne_u32_e32 vcc_lo, v27, v31
	v_add_nc_u32_e32 v27, 0xfffffc10, v29
	v_med3_i32 v28, v28, 0, 13
	v_or_b32_e32 v29, 0x1000, v17
	v_and_or_b32 v25, 0x8000, v22, v25
	v_cndmask_b32_e64 v26, 0, 1, vcc_lo
	v_lshl_or_b32 v31, v27, 12, v15
	v_cmp_gt_i32_e32 vcc_lo, 1, v27
	v_add_co_ci_u32_e64 v20, s1, s4, v13, s1
	v_or_b32_e32 v26, v32, v26
	v_and_b32_e32 v32, 0xffff, v21
	global_store_dword v[12:13], v3, off
	global_store_dword v[19:20], v6, off
	v_cvt_f32_f16_e32 v3, v9
	v_add_nc_u32_e32 v9, 0xfffffc10, v35
	v_cndmask_b32_e32 v26, v31, v26, vcc_lo
	v_lshrrev_b32_e32 v31, v28, v29
	v_mul_f64 v[21:22], v[23:24], s[2:3]
	v_cvt_f64_f32_e32 v[12:13], v3
	v_lshl_or_b32 v3, v25, 16, v32
	v_and_b32_e32 v23, 7, v26
	v_lshlrev_b32_e32 v24, v28, v31
	v_lshrrev_b32_e32 v28, 16, v4
	v_lshrrev_b32_e32 v18, 16, v18
	v_cmp_lt_i32_e32 vcc_lo, 5, v23
	v_cmp_ne_u32_e64 s0, v24, v29
	v_lshl_or_b32 v24, v9, 12, v17
	v_cndmask_b32_e64 v6, 0, 1, s0
	v_cmp_eq_u32_e64 s0, 3, v23
	v_lshrrev_b32_e32 v23, 2, v26
	v_or_b32_e32 v6, v31, v6
	s_or_b32 vcc_lo, s0, vcc_lo
	v_add_co_ci_u32_e32 v23, vcc_lo, 0, v23, vcc_lo
	v_cmp_ne_u32_e32 vcc_lo, 0, v15
	v_and_or_b32 v21, 0x1ff, v22, v21
	v_mul_f64 v[12:13], v[12:13], s[2:3]
	v_lshrrev_b32_e32 v25, 8, v22
	v_bfe_u32 v26, v22, 20, 11
	v_cndmask_b32_e64 v15, 0, 1, vcc_lo
	v_cmp_gt_i32_e32 vcc_lo, 1, v9
	v_lshrrev_b32_e32 v22, 16, v22
	v_lshl_or_b32 v15, v15, 9, 0x7c00
	v_cndmask_b32_e32 v6, v24, v6, vcc_lo
	v_add_co_u32 v19, vcc_lo, v19, s5
	v_add_co_ci_u32_e32 v20, vcc_lo, s4, v20, vcc_lo
	v_cmp_gt_i32_e32 vcc_lo, 31, v27
	v_and_b32_e32 v24, 7, v6
	v_lshrrev_b32_e32 v6, 2, v6
	global_store_dword v[19:20], v3, off
	v_cndmask_b32_e32 v23, 0x7c00, v23, vcc_lo
	v_cmp_ne_u32_e32 vcc_lo, 0, v21
	v_cmp_eq_u32_e64 s0, 3, v24
	v_and_or_b32 v12, 0x1ff, v13, v12
	v_bfe_u32 v30, v13, 20, 11
	v_cndmask_b32_e64 v21, 0, 1, vcc_lo
	v_cmp_eq_u32_e32 vcc_lo, 0x40f, v27
	v_lshrrev_b32_e32 v27, 16, v16
	v_sub_nc_u32_e32 v16, 0x3f1, v26
	v_and_or_b32 v21, 0xffe, v25, v21
	v_cndmask_b32_e32 v23, v23, v15, vcc_lo
	v_cmp_lt_i32_e32 vcc_lo, 5, v24
	v_mul_f16_sdwa v15, v126, v28 dst_sel:DWORD dst_unused:UNUSED_PAD src0_sel:WORD_1 src1_sel:DWORD
	v_med3_i32 v25, v16, 0, 13
	v_or_b32_e32 v24, 0x1000, v21
	v_and_or_b32 v23, 0x8000, v27, v23
	s_or_b32 vcc_lo, s0, vcc_lo
	v_fmac_f16_e32 v15, v126, v4
	v_add_co_ci_u32_e32 v6, vcc_lo, 0, v6, vcc_lo
	v_cmp_ne_u32_e32 vcc_lo, 0, v17
	v_lshrrev_b32_e32 v29, v25, v24
	v_cvt_f32_f16_e32 v15, v15
	v_lshrrev_b32_e32 v27, 8, v13
	v_mul_f16_sdwa v4, v126, v4 dst_sel:DWORD dst_unused:UNUSED_PAD src0_sel:WORD_1 src1_sel:DWORD
	v_cndmask_b32_e64 v17, 0, 1, vcc_lo
	v_cmp_gt_i32_e32 vcc_lo, 31, v9
	v_cvt_f64_f32_e32 v[15:16], v15
	v_lshlrev_b32_e32 v25, v25, v29
	v_fma_f16 v4, v126, v28, -v4
	v_lshl_or_b32 v17, v17, 9, 0x7c00
	v_cndmask_b32_e32 v6, 0x7c00, v6, vcc_lo
	v_cmp_ne_u32_e32 vcc_lo, 0, v12
	v_lshrrev_b32_e32 v28, 16, v14
	v_cvt_f32_f16_e32 v4, v4
	v_cndmask_b32_e64 v12, 0, 1, vcc_lo
	v_cmp_eq_u32_e32 vcc_lo, 0x40f, v9
	v_and_or_b32 v12, 0xffe, v27, v12
	v_cndmask_b32_e32 v6, v6, v17, vcc_lo
	v_cmp_ne_u32_e32 vcc_lo, v25, v24
	v_sub_nc_u32_e32 v17, 0x3f1, v30
	v_add_nc_u32_e32 v24, 0xfffffc10, v26
	v_or_b32_e32 v25, 0x1000, v12
	v_and_or_b32 v6, 0x8000, v18, v6
	v_cndmask_b32_e64 v9, 0, 1, vcc_lo
	v_med3_i32 v17, v17, 0, 13
	v_lshl_or_b32 v26, v24, 12, v21
	v_cmp_gt_i32_e32 vcc_lo, 1, v24
	v_mul_f64 v[15:16], v[15:16], s[2:3]
	v_or_b32_e32 v9, v29, v9
	v_and_b32_e32 v18, 0xffff, v23
	v_lshrrev_b32_e32 v23, v17, v25
	v_cndmask_b32_e32 v9, v26, v9, vcc_lo
	v_lshl_or_b32 v6, v6, 16, v18
	v_lshlrev_b32_e32 v3, v17, v23
	v_add_co_u32 v17, vcc_lo, v19, s5
	v_and_b32_e32 v26, 7, v9
	v_add_co_ci_u32_e32 v18, vcc_lo, s4, v20, vcc_lo
	v_cmp_ne_u32_e64 s1, v3, v25
	v_lshrrev_b32_e32 v9, 2, v9
	v_cmp_lt_i32_e32 vcc_lo, 5, v26
	v_cmp_eq_u32_e64 s0, 3, v26
	v_add_nc_u32_e32 v25, 0xfffffc10, v30
	v_cndmask_b32_e64 v19, 0, 1, s1
	v_cvt_f64_f32_e32 v[3:4], v4
	global_store_dword v[17:18], v6, off
	s_or_b32 vcc_lo, s0, vcc_lo
	v_and_or_b32 v15, 0x1ff, v16, v15
	v_add_co_ci_u32_e32 v9, vcc_lo, 0, v9, vcc_lo
	v_or_b32_e32 v19, v23, v19
	v_lshl_or_b32 v20, v25, 12, v12
	v_cmp_gt_i32_e32 vcc_lo, 1, v25
	v_bfe_u32 v23, v16, 20, 11
	v_cndmask_b32_e32 v19, v20, v19, vcc_lo
	v_cmp_ne_u32_e32 vcc_lo, 0, v15
	v_lshrrev_b32_e32 v20, 8, v16
	v_lshrrev_b32_e32 v16, 16, v16
	v_and_b32_e32 v26, 7, v19
	v_cndmask_b32_e64 v15, 0, 1, vcc_lo
	v_cmp_ne_u32_e32 vcc_lo, 0, v21
	v_lshrrev_b32_e32 v19, 2, v19
	v_mul_f64 v[3:4], v[3:4], s[2:3]
	v_cmp_eq_u32_e64 s0, 3, v26
	v_and_or_b32 v27, 0xffe, v20, v15
	v_cndmask_b32_e64 v21, 0, 1, vcc_lo
	v_cmp_gt_i32_e32 vcc_lo, 31, v24
	v_sub_nc_u32_e32 v15, 0x3f1, v23
	v_mul_f16_sdwa v20, v125, v28 dst_sel:DWORD dst_unused:UNUSED_PAD src0_sel:WORD_1 src1_sel:DWORD
	v_or_b32_e32 v29, 0x1000, v27
	v_lshl_or_b32 v21, v21, 9, 0x7c00
	v_cndmask_b32_e32 v9, 0x7c00, v9, vcc_lo
	v_cmp_lt_i32_e32 vcc_lo, 5, v26
	v_med3_i32 v15, v15, 0, 13
	v_fmac_f16_e32 v20, v125, v14
	v_add_nc_u32_e32 v23, 0xfffffc10, v23
	s_or_b32 vcc_lo, s0, vcc_lo
	v_lshrrev_b32_e32 v26, v15, v29
	v_add_co_ci_u32_e32 v30, vcc_lo, 0, v19, vcc_lo
	v_cmp_eq_u32_e32 vcc_lo, 0x40f, v24
	v_cvt_f32_f16_e32 v19, v20
	v_lshlrev_b32_e32 v15, v15, v26
	v_and_or_b32 v3, 0x1ff, v4, v3
	v_lshrrev_b32_e32 v24, 8, v4
	v_cndmask_b32_e32 v9, v9, v21, vcc_lo
	v_cmp_ne_u32_e32 vcc_lo, 0, v12
	v_cvt_f64_f32_e32 v[19:20], v19
	v_and_or_b32 v9, 0x8000, v22, v9
	v_cndmask_b32_e64 v12, 0, 1, vcc_lo
	v_cmp_gt_i32_e32 vcc_lo, 31, v25
	v_and_b32_e32 v9, 0xffff, v9
	v_lshl_or_b32 v12, v12, 9, 0x7c00
	v_cndmask_b32_e32 v21, 0x7c00, v30, vcc_lo
	v_cmp_ne_u32_e32 vcc_lo, v15, v29
	v_bfe_u32 v29, v4, 20, 11
	v_lshrrev_b32_e32 v4, 16, v4
	v_cndmask_b32_e64 v15, 0, 1, vcc_lo
	v_cmp_ne_u32_e32 vcc_lo, 0, v3
	v_or_b32_e32 v15, v26, v15
	v_cndmask_b32_e64 v3, 0, 1, vcc_lo
	v_cmp_eq_u32_e32 vcc_lo, 0x40f, v25
	v_lshl_or_b32 v25, v23, 12, v27
	v_lshrrev_b32_e32 v26, 16, v13
	v_and_or_b32 v24, 0xffe, v24, v3
	v_cndmask_b32_e32 v21, v21, v12, vcc_lo
	v_sub_nc_u32_e32 v3, 0x3f1, v29
	v_cmp_gt_i32_e32 vcc_lo, 1, v23
	v_mul_f64 v[12:13], v[19:20], s[2:3]
	v_or_b32_e32 v22, 0x1000, v24
	v_med3_i32 v30, v3, 0, 13
	v_mul_f16_sdwa v3, v125, v14 dst_sel:DWORD dst_unused:UNUSED_PAD src0_sel:WORD_1 src1_sel:DWORD
	v_cndmask_b32_e32 v14, v25, v15, vcc_lo
	v_and_or_b32 v15, 0x8000, v26, v21
	v_lshrrev_b32_e32 v25, 16, v0
	v_lshrrev_b32_e32 v20, v30, v22
	v_fma_f16 v19, v125, v28, -v3
	v_and_b32_e32 v21, 7, v14
	v_lshl_or_b32 v3, v15, 16, v9
	v_lshlrev_b32_e32 v9, v30, v20
	v_cvt_f32_f16_e32 v6, v19
	v_cmp_lt_i32_e32 vcc_lo, 5, v21
	v_cmp_eq_u32_e64 s0, 3, v21
	v_lshrrev_b32_e32 v19, 2, v14
	v_cmp_ne_u32_e64 s1, v9, v22
	v_cvt_f64_f32_e32 v[14:15], v6
	v_add_nc_u32_e32 v9, 0xfffffc10, v29
	s_or_b32 vcc_lo, s0, vcc_lo
	v_and_or_b32 v12, 0x1ff, v13, v12
	v_add_co_ci_u32_e32 v19, vcc_lo, 0, v19, vcc_lo
	v_add_co_u32 v17, vcc_lo, v17, s5
	v_add_co_ci_u32_e32 v18, vcc_lo, s4, v18, vcc_lo
	v_cmp_ne_u32_e32 vcc_lo, 0, v27
	v_cndmask_b32_e64 v6, 0, 1, s1
	v_lshrrev_b32_e32 v22, 8, v13
	v_bfe_u32 v26, v13, 20, 11
	v_cmp_eq_u32_e64 s1, 0x40f, v23
	v_cndmask_b32_e64 v21, 0, 1, vcc_lo
	v_cmp_ne_u32_e32 vcc_lo, 0, v12
	v_or_b32_e32 v6, v20, v6
	v_lshl_or_b32 v20, v9, 12, v24
	v_lshrrev_b32_e32 v30, 16, v11
	v_lshl_or_b32 v21, v21, 9, 0x7c00
	v_cndmask_b32_e64 v12, 0, 1, vcc_lo
	v_cmp_gt_i32_e32 vcc_lo, 1, v9
	v_mul_f64 v[14:15], v[14:15], s[2:3]
	v_and_or_b32 v12, 0xffe, v22, v12
	v_cndmask_b32_e32 v6, v20, v6, vcc_lo
	v_mul_f16_sdwa v20, v124, v25 dst_sel:DWORD dst_unused:UNUSED_PAD src0_sel:WORD_1 src1_sel:DWORD
	v_cmp_gt_i32_e32 vcc_lo, 31, v23
	v_sub_nc_u32_e32 v22, 0x3f1, v26
	v_or_b32_e32 v28, 0x1000, v12
	v_and_b32_e32 v27, 7, v6
	v_fmac_f16_e32 v20, v124, v0
	v_cndmask_b32_e32 v19, 0x7c00, v19, vcc_lo
	v_lshrrev_b32_e32 v6, 2, v6
	v_med3_i32 v22, v22, 0, 13
	v_cmp_lt_i32_e32 vcc_lo, 5, v27
	v_cmp_eq_u32_e64 s0, 3, v27
	v_cvt_f32_f16_e32 v20, v20
	v_cndmask_b32_e64 v21, v19, v21, s1
	v_lshrrev_b32_e32 v27, v22, v28
	v_add_nc_u32_e32 v26, 0xfffffc10, v26
	s_or_b32 vcc_lo, s0, vcc_lo
	v_cvt_f64_f32_e32 v[19:20], v20
	v_add_co_ci_u32_e32 v6, vcc_lo, 0, v6, vcc_lo
	v_cmp_ne_u32_e32 vcc_lo, 0, v24
	v_lshlrev_b32_e32 v22, v22, v27
	v_and_or_b32 v14, 0x1ff, v15, v14
	v_mul_f16_sdwa v0, v124, v0 dst_sel:DWORD dst_unused:UNUSED_PAD src0_sel:WORD_1 src1_sel:DWORD
	v_lshrrev_b32_e32 v24, 8, v15
	v_cndmask_b32_e64 v23, 0, 1, vcc_lo
	v_cmp_gt_i32_e32 vcc_lo, 31, v9
	v_and_or_b32 v16, 0x8000, v16, v21
	v_fma_f16 v0, v124, v25, -v0
	v_lshl_or_b32 v23, v23, 9, 0x7c00
	v_cndmask_b32_e32 v6, 0x7c00, v6, vcc_lo
	v_cmp_ne_u32_e32 vcc_lo, v22, v28
	v_bfe_u32 v28, v15, 20, 11
	v_cvt_f32_f16_e32 v0, v0
	v_lshrrev_b32_e32 v15, 16, v15
	v_cndmask_b32_e64 v22, 0, 1, vcc_lo
	v_cmp_ne_u32_e32 vcc_lo, 0, v14
	v_mul_f64 v[19:20], v[19:20], s[2:3]
	v_or_b32_e32 v22, v27, v22
	v_cndmask_b32_e64 v14, 0, 1, vcc_lo
	v_cmp_eq_u32_e32 vcc_lo, 0x40f, v9
	v_lshl_or_b32 v27, v26, 12, v12
	v_and_or_b32 v14, 0xffe, v24, v14
	v_cndmask_b32_e32 v6, v6, v23, vcc_lo
	v_cmp_gt_i32_e32 vcc_lo, 1, v26
	v_sub_nc_u32_e32 v24, 0x3f1, v28
	v_or_b32_e32 v29, 0x1000, v14
	v_and_or_b32 v4, 0x8000, v4, v6
	v_cndmask_b32_e32 v9, v27, v22, vcc_lo
	v_med3_i32 v24, v24, 0, 13
	v_and_b32_e32 v6, 0xffff, v16
	v_cvt_f64_f32_e32 v[21:22], v0
	v_add_nc_u32_e32 v16, 0xfffffc10, v28
	v_and_b32_e32 v25, 7, v9
	v_lshrrev_b32_e32 v23, v24, v29
	v_lshl_or_b32 v4, v4, 16, v6
	v_lshrrev_b32_e32 v6, 2, v9
	v_and_or_b32 v9, 0x1ff, v20, v19
	v_cmp_lt_i32_e32 vcc_lo, 5, v25
	v_cmp_eq_u32_e64 s0, 3, v25
	v_lshlrev_b32_e32 v0, v24, v23
	v_lshrrev_b32_e32 v19, 8, v20
	v_bfe_u32 v25, v20, 20, 11
	s_or_b32 vcc_lo, s0, vcc_lo
	v_cmp_ne_u32_e64 s1, v0, v29
	v_add_co_ci_u32_e32 v6, vcc_lo, 0, v6, vcc_lo
	v_cmp_ne_u32_e32 vcc_lo, 0, v9
	v_cndmask_b32_e64 v0, 0, 1, s1
	v_cmp_eq_u32_e64 s1, 0x40f, v16
	v_cndmask_b32_e64 v9, 0, 1, vcc_lo
	v_cmp_ne_u32_e32 vcc_lo, 0, v12
	v_or_b32_e32 v0, v23, v0
	v_lshl_or_b32 v23, v16, 12, v14
	v_mul_f64 v[21:22], v[21:22], s[2:3]
	v_and_or_b32 v9, 0xffe, v19, v9
	v_cndmask_b32_e64 v12, 0, 1, vcc_lo
	v_cmp_gt_i32_e32 vcc_lo, 1, v16
	v_sub_nc_u32_e32 v19, 0x3f1, v25
	v_or_b32_e32 v27, 0x1000, v9
	v_lshl_or_b32 v12, v12, 9, 0x7c00
	v_cndmask_b32_e32 v0, v23, v0, vcc_lo
	v_cmp_gt_i32_e32 vcc_lo, 31, v26
	v_med3_i32 v19, v19, 0, 13
	v_mad_u64_u32 v[23:24], null, 0xffffc928, s8, v[17:18]
	v_and_b32_e32 v28, 7, v0
	v_cndmask_b32_e32 v6, 0x7c00, v6, vcc_lo
	v_cmp_eq_u32_e32 vcc_lo, 0x40f, v26
	v_lshrrev_b32_e32 v29, v19, v27
	v_lshrrev_b32_e32 v0, 2, v0
	v_cmp_eq_u32_e64 s0, 3, v28
	v_add_nc_u32_e32 v24, s6, v24
	v_cndmask_b32_e32 v6, v6, v12, vcc_lo
	v_cmp_lt_i32_e32 vcc_lo, 5, v28
	v_lshrrev_b32_e32 v12, 16, v13
	v_lshlrev_b32_e32 v19, v19, v29
	v_mul_f16_sdwa v13, v123, v30 dst_sel:DWORD dst_unused:UNUSED_PAD src0_sel:WORD_1 src1_sel:DWORD
	v_lshrrev_b32_e32 v26, 8, v22
	s_or_b32 vcc_lo, s0, vcc_lo
	v_and_or_b32 v6, 0x8000, v12, v6
	v_add_co_ci_u32_e32 v0, vcc_lo, 0, v0, vcc_lo
	v_and_or_b32 v12, 0x1ff, v22, v21
	v_cmp_ne_u32_e32 vcc_lo, v19, v27
	v_fmac_f16_e32 v13, v123, v11
	v_add_nc_u32_e32 v21, 0xfffffc10, v25
	v_bfe_u32 v27, v22, 20, 11
	v_mul_f16_sdwa v11, v123, v11 dst_sel:DWORD dst_unused:UNUSED_PAD src0_sel:WORD_1 src1_sel:DWORD
	v_cndmask_b32_e64 v19, 0, 1, vcc_lo
	v_cmp_ne_u32_e32 vcc_lo, 0, v12
	v_cvt_f32_f16_e32 v13, v13
	v_lshl_or_b32 v28, v21, 12, v9
	v_fma_f16 v11, v123, v30, -v11
	v_or_b32_e32 v19, v29, v19
	v_cndmask_b32_e64 v25, 0, 1, vcc_lo
	v_cvt_f64_f32_e32 v[12:13], v13
	v_cmp_gt_i32_e32 vcc_lo, 1, v21
	v_and_b32_e32 v6, 0xffff, v6
	global_store_dword v[17:18], v3, off
	global_store_dword v[23:24], v4, off
	v_and_or_b32 v25, 0xffe, v26, v25
	v_sub_nc_u32_e32 v26, 0x3f1, v27
	v_cndmask_b32_e32 v19, v28, v19, vcc_lo
	v_cmp_ne_u32_e32 vcc_lo, 0, v14
	v_or_b32_e32 v28, 0x1000, v25
	v_med3_i32 v26, v26, 0, 13
	v_and_b32_e32 v29, 7, v19
	v_cndmask_b32_e64 v14, 0, 1, vcc_lo
	v_cmp_gt_i32_e32 vcc_lo, 31, v16
	v_lshrrev_b32_e32 v19, 2, v19
	v_lshrrev_b32_e32 v30, v26, v28
	v_cmp_eq_u32_e64 s0, 3, v29
	v_lshl_or_b32 v14, v14, 9, 0x7c00
	v_cndmask_b32_e32 v0, 0x7c00, v0, vcc_lo
	v_cmp_lt_i32_e32 vcc_lo, 5, v29
	v_cvt_f32_f16_e32 v29, v11
	v_lshlrev_b32_e32 v16, v26, v30
	v_mul_f64 v[11:12], v[12:13], s[2:3]
	v_cndmask_b32_e64 v0, v0, v14, s1
	s_or_b32 vcc_lo, s0, vcc_lo
	v_cvt_f64_f32_e32 v[13:14], v29
	v_add_co_ci_u32_e32 v19, vcc_lo, 0, v19, vcc_lo
	v_cmp_ne_u32_e32 vcc_lo, v16, v28
	v_add_nc_u32_e32 v26, 0xfffffc10, v27
	v_and_or_b32 v0, 0x8000, v15, v0
	v_cndmask_b32_e64 v16, 0, 1, vcc_lo
	v_cmp_ne_u32_e32 vcc_lo, 0, v9
	v_lshl_or_b32 v27, v26, 12, v25
	v_lshl_or_b32 v6, v0, 16, v6
	v_lshrrev_b32_e32 v0, 16, v1
	v_or_b32_e32 v16, v30, v16
	v_cndmask_b32_e64 v9, 0, 1, vcc_lo
	v_cmp_gt_i32_e32 vcc_lo, 31, v21
	v_mul_f16_sdwa v17, v122, v0 dst_sel:DWORD dst_unused:UNUSED_PAD src0_sel:WORD_1 src1_sel:DWORD
	v_lshl_or_b32 v9, v9, 9, 0x7c00
	v_cndmask_b32_e32 v19, 0x7c00, v19, vcc_lo
	v_cmp_gt_i32_e32 vcc_lo, 1, v26
	v_and_or_b32 v11, 0x1ff, v12, v11
	v_mul_f64 v[13:14], v[13:14], s[2:3]
	v_lshrrev_b32_e32 v4, 8, v12
	v_fmac_f16_e32 v17, v122, v1
	v_cndmask_b32_e32 v15, v27, v16, vcc_lo
	v_cmp_eq_u32_e32 vcc_lo, 0x40f, v21
	v_cmp_ne_u32_e64 s0, 0, v11
	v_bfe_u32 v11, v12, 20, 11
	v_lshrrev_b32_e32 v16, 16, v20
	v_mul_f16_sdwa v1, v122, v1 dst_sel:DWORD dst_unused:UNUSED_PAD src0_sel:WORD_1 src1_sel:DWORD
	v_cndmask_b32_e32 v9, v19, v9, vcc_lo
	v_and_b32_e32 v19, 7, v15
	v_cndmask_b32_e64 v3, 0, 1, s0
	v_lshrrev_b32_e32 v15, 2, v15
	v_lshrrev_b32_e32 v12, 16, v12
	v_and_or_b32 v9, 0x8000, v16, v9
	v_cmp_lt_i32_e32 vcc_lo, 5, v19
	v_cmp_eq_u32_e64 s0, 3, v19
	v_and_or_b32 v18, 0xffe, v4, v3
	v_sub_nc_u32_e32 v3, 0x3f1, v11
	v_add_nc_u32_e32 v11, 0xfffffc10, v11
	v_and_b32_e32 v9, 0xffff, v9
	s_or_b32 vcc_lo, s0, vcc_lo
	v_or_b32_e32 v19, 0x1000, v18
	v_add_co_ci_u32_e32 v15, vcc_lo, 0, v15, vcc_lo
	v_cmp_ne_u32_e32 vcc_lo, 0, v25
	v_med3_i32 v20, v3, 0, 13
	v_cvt_f32_f16_e32 v3, v17
	v_and_or_b32 v13, 0x1ff, v14, v13
	v_lshrrev_b32_e32 v25, 8, v14
	v_cndmask_b32_e64 v17, 0, 1, vcc_lo
	v_cmp_gt_i32_e32 vcc_lo, 31, v26
	v_lshrrev_b32_e32 v21, v20, v19
	v_bfe_u32 v27, v14, 20, 11
	v_cvt_f64_f32_e32 v[3:4], v3
	v_lshl_or_b32 v17, v17, 9, 0x7c00
	v_cndmask_b32_e32 v15, 0x7c00, v15, vcc_lo
	v_cmp_ne_u32_e32 vcc_lo, 0, v13
	v_lshlrev_b32_e32 v20, v20, v21
	v_sub_nc_u32_e32 v16, 0x3f1, v27
	v_cndmask_b32_e64 v13, 0, 1, vcc_lo
	v_cmp_ne_u32_e32 vcc_lo, v20, v19
	v_med3_i32 v16, v16, 0, 13
	v_and_or_b32 v13, 0xffe, v25, v13
	v_cndmask_b32_e64 v19, 0, 1, vcc_lo
	v_cmp_eq_u32_e32 vcc_lo, 0x40f, v26
	v_or_b32_e32 v20, 0x1000, v13
	v_or_b32_e32 v19, v21, v19
	v_cndmask_b32_e32 v15, v15, v17, vcc_lo
	v_lshrrev_b32_e32 v17, 16, v22
	v_lshl_or_b32 v21, v11, 12, v18
	v_lshrrev_b32_e32 v22, v16, v20
	v_cmp_gt_i32_e32 vcc_lo, 1, v11
	v_mul_f64 v[3:4], v[3:4], s[2:3]
	v_and_or_b32 v17, 0x8000, v17, v15
	v_lshlrev_b32_e32 v15, v16, v22
	v_cndmask_b32_e32 v19, v21, v19, vcc_lo
	v_fma_f16 v16, v122, v0, -v1
	v_add_co_u32 v0, vcc_lo, v23, s5
	v_cmp_ne_u32_e64 s0, v15, v20
	v_and_b32_e32 v21, 7, v19
	v_add_co_ci_u32_e32 v1, vcc_lo, s4, v24, vcc_lo
	v_cvt_f32_f16_e32 v16, v16
	v_cndmask_b32_e64 v20, 0, 1, s0
	v_cmp_lt_i32_e32 vcc_lo, 5, v21
	v_cmp_eq_u32_e64 s0, 3, v21
	v_lshrrev_b32_e32 v19, 2, v19
	v_cvt_f64_f32_e32 v[15:16], v16
	v_add_nc_u32_e32 v23, 0xfffffc10, v27
	v_or_b32_e32 v20, v22, v20
	s_or_b32 vcc_lo, s0, vcc_lo
	v_lshl_or_b32 v9, v17, 16, v9
	v_add_co_ci_u32_e32 v19, vcc_lo, 0, v19, vcc_lo
	v_cmp_ne_u32_e32 vcc_lo, 0, v18
	v_lshl_or_b32 v21, v23, 12, v13
	v_and_or_b32 v3, 0x1ff, v4, v3
	v_bfe_u32 v22, v4, 20, 11
	global_store_dword v[0:1], v6, off
	v_cndmask_b32_e64 v18, 0, 1, vcc_lo
	v_cmp_gt_i32_e32 vcc_lo, 1, v23
	v_lshl_or_b32 v18, v18, 9, 0x7c00
	v_cndmask_b32_e32 v20, v21, v20, vcc_lo
	v_cmp_gt_i32_e32 vcc_lo, 31, v11
	v_lshrrev_b32_e32 v21, 8, v4
	v_lshrrev_b32_e32 v4, 16, v4
	v_mul_f64 v[15:16], v[15:16], s[2:3]
	v_cndmask_b32_e32 v17, 0x7c00, v19, vcc_lo
	v_cmp_ne_u32_e32 vcc_lo, 0, v3
	v_and_b32_e32 v19, 7, v20
	v_cndmask_b32_e64 v3, 0, 1, vcc_lo
	v_cmp_eq_u32_e32 vcc_lo, 0x40f, v11
	v_cmp_eq_u32_e64 s0, 3, v19
	v_and_or_b32 v3, 0xffe, v21, v3
	v_cndmask_b32_e32 v11, v17, v18, vcc_lo
	v_cmp_lt_i32_e32 vcc_lo, 5, v19
	v_lshrrev_b32_e32 v19, 2, v20
	v_lshrrev_b32_e32 v18, 16, v8
	v_sub_nc_u32_e32 v17, 0x3f1, v22
	v_or_b32_e32 v20, 0x1000, v3
	s_or_b32 vcc_lo, s0, vcc_lo
	v_and_or_b32 v25, 0x8000, v12, v11
	v_add_co_ci_u32_e32 v19, vcc_lo, 0, v19, vcc_lo
	v_cmp_ne_u32_e32 vcc_lo, 0, v13
	v_mul_f16_sdwa v21, v121, v18 dst_sel:DWORD dst_unused:UNUSED_PAD src0_sel:WORD_1 src1_sel:DWORD
	v_med3_i32 v17, v17, 0, 13
	v_and_or_b32 v15, 0x1ff, v16, v15
	v_cndmask_b32_e64 v13, 0, 1, vcc_lo
	v_cmp_gt_i32_e32 vcc_lo, 31, v23
	v_fmac_f16_e32 v21, v121, v8
	v_lshrrev_b32_e32 v24, v17, v20
	v_mul_f16_sdwa v8, v121, v8 dst_sel:DWORD dst_unused:UNUSED_PAD src0_sel:WORD_1 src1_sel:DWORD
	v_lshl_or_b32 v13, v13, 9, 0x7c00
	v_cndmask_b32_e32 v19, 0x7c00, v19, vcc_lo
	v_cmp_eq_u32_e32 vcc_lo, 0x40f, v23
	v_cvt_f32_f16_e32 v21, v21
	v_lshlrev_b32_e32 v17, v17, v24
	v_cndmask_b32_e32 v19, v19, v13, vcc_lo
	v_cmp_ne_u32_e32 vcc_lo, 0, v15
	v_cvt_f64_f32_e32 v[11:12], v21
	v_lshrrev_b32_e32 v15, 8, v16
	v_bfe_u32 v21, v16, 20, 11
	v_lshrrev_b32_e32 v16, 16, v16
	v_cndmask_b32_e64 v13, 0, 1, vcc_lo
	v_cmp_ne_u32_e32 vcc_lo, v17, v20
	v_add_nc_u32_e32 v20, 0xfffffc10, v22
	v_lshrrev_b32_e32 v22, 16, v14
	v_and_or_b32 v15, 0xffe, v15, v13
	v_sub_nc_u32_e32 v13, 0x3f1, v21
	v_cndmask_b32_e64 v17, 0, 1, vcc_lo
	v_lshl_or_b32 v23, v20, 12, v3
	v_and_or_b32 v19, 0x8000, v22, v19
	v_and_b32_e32 v22, 0xffff, v25
	v_med3_i32 v26, v13, 0, 13
	v_add_co_u32 v13, vcc_lo, v0, s5
	v_add_co_ci_u32_e32 v14, vcc_lo, s4, v1, vcc_lo
	v_or_b32_e32 v17, v24, v17
	v_cmp_gt_i32_e32 vcc_lo, 1, v20
	v_or_b32_e32 v24, 0x1000, v15
	v_fma_f16 v0, v121, v18, -v8
	v_mul_f64 v[11:12], v[11:12], s[2:3]
	global_store_dword v[13:14], v9, off
	v_cndmask_b32_e32 v17, v23, v17, vcc_lo
	v_lshrrev_b32_e32 v23, v26, v24
	v_cvt_f32_f16_e32 v0, v0
	v_lshl_or_b32 v6, v19, 16, v22
	v_and_b32_e32 v1, 7, v17
	v_lshlrev_b32_e32 v8, v26, v23
	v_lshrrev_b32_e32 v9, 2, v17
	v_add_nc_u32_e32 v17, 0xfffffc10, v21
	v_cmp_lt_i32_e32 vcc_lo, 5, v1
	v_cmp_eq_u32_e64 s0, 3, v1
	v_cmp_ne_u32_e64 s1, v8, v24
	v_cvt_f64_f32_e32 v[0:1], v0
	v_lshl_or_b32 v21, v17, 12, v15
	s_or_b32 vcc_lo, s0, vcc_lo
	v_cndmask_b32_e64 v8, 0, 1, s1
	v_add_co_ci_u32_e32 v18, vcc_lo, 0, v9, vcc_lo
	v_cmp_ne_u32_e32 vcc_lo, 0, v3
	v_and_or_b32 v11, 0x1ff, v12, v11
	v_or_b32_e32 v19, v23, v8
	v_cmp_eq_u32_e64 s1, 0x40f, v20
	v_cndmask_b32_e64 v3, 0, 1, vcc_lo
	v_add_co_u32 v8, vcc_lo, v13, s5
	v_add_co_ci_u32_e32 v9, vcc_lo, s4, v14, vcc_lo
	v_cmp_gt_i32_e32 vcc_lo, 1, v17
	v_lshl_or_b32 v3, v3, 9, 0x7c00
	global_store_dword v[8:9], v6, off
	v_cndmask_b32_e32 v13, v21, v19, vcc_lo
	v_cmp_gt_i32_e32 vcc_lo, 31, v20
	v_bfe_u32 v19, v12, 20, 11
	v_mul_f64 v[0:1], v[0:1], s[2:3]
	v_and_b32_e32 v21, 7, v13
	v_cndmask_b32_e32 v14, 0x7c00, v18, vcc_lo
	v_cmp_ne_u32_e32 vcc_lo, 0, v11
	v_lshrrev_b32_e32 v18, 8, v12
	v_sub_nc_u32_e32 v22, 0x3f1, v19
	v_cmp_eq_u32_e64 s0, 3, v21
	v_lshrrev_b32_e32 v13, 2, v13
	v_cndmask_b32_e64 v11, 0, 1, vcc_lo
	v_cmp_lt_i32_e32 vcc_lo, 5, v21
	v_med3_i32 v22, v22, 0, 13
	v_cndmask_b32_e64 v3, v14, v3, s1
	v_add_nc_u32_e32 v19, 0xfffffc10, v19
	v_and_or_b32 v11, 0xffe, v18, v11
	v_lshrrev_b32_e32 v18, 16, v2
	s_or_b32 vcc_lo, s0, vcc_lo
	v_add_co_ci_u32_e32 v13, vcc_lo, 0, v13, vcc_lo
	v_or_b32_e32 v21, 0x1000, v11
	v_mul_f16_sdwa v23, v120, v18 dst_sel:DWORD dst_unused:UNUSED_PAD src0_sel:WORD_1 src1_sel:DWORD
	v_cmp_ne_u32_e32 vcc_lo, 0, v15
	v_and_or_b32 v0, 0x1ff, v1, v0
	v_bfe_u32 v24, v1, 20, 11
	v_lshrrev_b32_e32 v20, v22, v21
	v_fmac_f16_e32 v23, v120, v2
	v_cndmask_b32_e64 v15, 0, 1, vcc_lo
	v_cmp_gt_i32_e32 vcc_lo, 31, v17
	v_mul_f16_sdwa v2, v120, v2 dst_sel:DWORD dst_unused:UNUSED_PAD src0_sel:WORD_1 src1_sel:DWORD
	v_lshlrev_b32_e32 v22, v22, v20
	v_cvt_f32_f16_e32 v14, v23
	v_lshl_or_b32 v15, v15, 9, 0x7c00
	v_cndmask_b32_e32 v23, 0x7c00, v13, vcc_lo
	v_fma_f16 v2, v120, v18, -v2
	v_cmp_ne_u32_e32 vcc_lo, v22, v21
	v_cvt_f64_f32_e32 v[13:14], v14
	v_lshrrev_b32_e32 v22, 8, v1
	v_add_nc_u32_e32 v18, 0xfffffc10, v24
	v_cvt_f32_f16_e32 v2, v2
	v_cndmask_b32_e64 v21, 0, 1, vcc_lo
	v_cmp_ne_u32_e32 vcc_lo, 0, v0
	v_lshrrev_b32_e32 v1, 16, v1
	v_or_b32_e32 v20, v20, v21
	v_cndmask_b32_e64 v0, 0, 1, vcc_lo
	v_cmp_eq_u32_e32 vcc_lo, 0x40f, v17
	v_lshl_or_b32 v21, v19, 12, v11
	v_and_or_b32 v0, 0xffe, v22, v0
	v_sub_nc_u32_e32 v22, 0x3f1, v24
	v_cndmask_b32_e32 v15, v23, v15, vcc_lo
	v_cmp_gt_i32_e32 vcc_lo, 1, v19
	v_cndmask_b32_e32 v17, v21, v20, vcc_lo
	v_or_b32_e32 v20, 0x1000, v0
	v_med3_i32 v21, v22, 0, 13
	v_and_or_b32 v22, 0x8000, v4, v3
	v_mul_f64 v[3:4], v[13:14], s[2:3]
	v_and_or_b32 v13, 0x8000, v16, v15
	v_and_b32_e32 v14, 7, v17
	v_lshrrev_b32_e32 v15, v21, v20
	v_and_b32_e32 v16, 0xffff, v22
	v_lshrrev_b32_e32 v17, 2, v17
	v_cmp_lt_i32_e32 vcc_lo, 5, v14
	v_lshlrev_b32_e32 v6, v21, v15
	v_cmp_eq_u32_e64 s0, 3, v14
	v_lshl_or_b32 v16, v13, 16, v16
	v_cvt_f64_f32_e32 v[13:14], v2
	v_lshrrev_b32_e32 v21, 16, v7
	v_cmp_ne_u32_e64 s1, v6, v20
	s_or_b32 vcc_lo, s0, vcc_lo
	v_add_co_ci_u32_e32 v2, vcc_lo, 0, v17, vcc_lo
	v_cndmask_b32_e64 v6, 0, 1, s1
	v_cmp_ne_u32_e32 vcc_lo, 0, v11
	v_mul_f16_sdwa v24, v119, v21 dst_sel:DWORD dst_unused:UNUSED_PAD src0_sel:WORD_1 src1_sel:DWORD
	v_and_or_b32 v3, 0x1ff, v4, v3
	v_or_b32_e32 v6, v15, v6
	v_lshl_or_b32 v15, v18, 12, v0
	v_cndmask_b32_e64 v11, 0, 1, vcc_lo
	v_cmp_gt_i32_e32 vcc_lo, 1, v18
	v_bfe_u32 v17, v4, 20, 11
	v_fmac_f16_e32 v24, v119, v7
	v_lshl_or_b32 v11, v11, 9, 0x7c00
	v_cndmask_b32_e32 v6, v15, v6, vcc_lo
	v_cmp_ne_u32_e32 vcc_lo, 0, v3
	v_lshrrev_b32_e32 v15, 8, v4
	v_sub_nc_u32_e32 v23, 0x3f1, v17
	v_add_nc_u32_e32 v17, 0xfffffc10, v17
	v_and_b32_e32 v20, 7, v6
	v_cndmask_b32_e64 v3, 0, 1, vcc_lo
	v_cmp_gt_i32_e32 vcc_lo, 31, v19
	v_lshrrev_b32_e32 v6, 2, v6
	v_lshrrev_b32_e32 v4, 16, v4
	v_cmp_eq_u32_e64 s0, 3, v20
	v_and_or_b32 v15, 0xffe, v15, v3
	v_cndmask_b32_e32 v22, 0x7c00, v2, vcc_lo
	v_cmp_lt_i32_e32 vcc_lo, 5, v20
	v_mul_f64 v[2:3], v[13:14], s[2:3]
	v_med3_i32 v13, v23, 0, 13
	v_or_b32_e32 v25, 0x1000, v15
	v_cvt_f32_f16_e32 v14, v24
	s_or_b32 vcc_lo, s0, vcc_lo
	v_add_co_ci_u32_e32 v6, vcc_lo, 0, v6, vcc_lo
	v_add_co_u32 v8, vcc_lo, v8, s5
	v_add_co_ci_u32_e32 v9, vcc_lo, s4, v9, vcc_lo
	v_lshrrev_b32_e32 v20, v13, v25
	v_cmp_ne_u32_e32 vcc_lo, 0, v0
	global_store_dword v[8:9], v16, off
	v_lshlrev_b32_e32 v23, v13, v20
	v_cvt_f64_f32_e32 v[13:14], v14
	v_cndmask_b32_e64 v0, 0, 1, vcc_lo
	v_cmp_eq_u32_e32 vcc_lo, 0x40f, v19
	v_and_or_b32 v2, 0x1ff, v3, v2
	v_lshl_or_b32 v0, v0, 9, 0x7c00
	v_cndmask_b32_e32 v19, v22, v11, vcc_lo
	v_cmp_gt_i32_e32 vcc_lo, 31, v18
	v_lshrrev_b32_e32 v22, 16, v12
	v_cndmask_b32_e32 v6, 0x7c00, v6, vcc_lo
	v_cmp_ne_u32_e32 vcc_lo, v23, v25
	v_cndmask_b32_e64 v11, 0, 1, vcc_lo
	v_cmp_eq_u32_e32 vcc_lo, 0x40f, v18
	v_lshrrev_b32_e32 v18, 8, v3
	v_cndmask_b32_e32 v0, v6, v0, vcc_lo
	v_cmp_ne_u32_e32 vcc_lo, 0, v2
	v_or_b32_e32 v6, v20, v11
	v_mul_f64 v[11:12], v[13:14], s[2:3]
	v_bfe_u32 v20, v3, 20, 11
	v_lshl_or_b32 v13, v17, 12, v15
	v_cndmask_b32_e64 v2, 0, 1, vcc_lo
	v_cmp_gt_i32_e32 vcc_lo, 1, v17
	v_and_or_b32 v14, 0x8000, v22, v19
	v_and_or_b32 v0, 0x8000, v1, v0
	v_lshrrev_b32_e32 v3, 16, v3
	v_and_or_b32 v18, 0xffe, v18, v2
	v_sub_nc_u32_e32 v2, 0x3f1, v20
	v_cndmask_b32_e32 v6, v13, v6, vcc_lo
	v_or_b32_e32 v13, 0x1000, v18
	v_med3_i32 v1, v2, 0, 13
	v_mul_f16_sdwa v2, v119, v7 dst_sel:DWORD dst_unused:UNUSED_PAD src0_sel:WORD_1 src1_sel:DWORD
	v_and_b32_e32 v7, 0xffff, v14
	v_and_b32_e32 v14, 7, v6
	v_lshrrev_b32_e32 v16, v1, v13
	v_fma_f16 v19, v119, v21, -v2
	v_lshl_or_b32 v2, v0, 16, v7
	v_and_or_b32 v11, 0x1ff, v12, v11
	v_add_co_u32 v0, s1, v8, s5
	v_cvt_f32_f16_e32 v7, v19
	v_cmp_lt_i32_e32 vcc_lo, 5, v14
	v_cmp_eq_u32_e64 s0, 3, v14
	v_lshlrev_b32_e32 v14, v1, v16
	v_add_co_ci_u32_e64 v1, s1, s4, v9, s1
	v_cmp_ne_u32_e64 s1, 0, v11
	v_lshrrev_b32_e32 v8, 2, v6
	v_cvt_f64_f32_e32 v[6:7], v7
	v_lshrrev_b32_e32 v11, 8, v12
	v_bfe_u32 v19, v12, 20, 11
	v_cndmask_b32_e64 v9, 0, 1, s1
	v_cmp_ne_u32_e64 s1, v14, v13
	v_add_nc_u32_e32 v14, 0xfffffc10, v20
	s_or_b32 vcc_lo, s0, vcc_lo
	v_lshrrev_b32_e32 v21, 16, v5
	v_add_co_ci_u32_e32 v8, vcc_lo, 0, v8, vcc_lo
	v_cndmask_b32_e64 v13, 0, 1, s1
	v_and_or_b32 v11, 0xffe, v11, v9
	v_sub_nc_u32_e32 v9, 0x3f1, v19
	v_cmp_gt_i32_e32 vcc_lo, 1, v14
	v_mul_f16_sdwa v22, v118, v21 dst_sel:DWORD dst_unused:UNUSED_PAD src0_sel:WORD_1 src1_sel:DWORD
	v_or_b32_e32 v13, v16, v13
	v_lshl_or_b32 v16, v14, 12, v18
	v_or_b32_e32 v20, 0x1000, v11
	v_med3_i32 v9, v9, 0, 13
	v_cmp_eq_u32_e64 s1, 0x40f, v17
	v_fmac_f16_e32 v22, v118, v5
	v_cndmask_b32_e32 v13, v16, v13, vcc_lo
	v_cmp_ne_u32_e32 vcc_lo, 0, v15
	v_mul_f64 v[6:7], v[6:7], s[2:3]
	v_lshrrev_b32_e32 v16, v9, v20
	v_add_nc_u32_e32 v19, 0xfffffc10, v19
	v_and_b32_e32 v23, 7, v13
	v_cndmask_b32_e64 v15, 0, 1, vcc_lo
	v_cmp_gt_i32_e32 vcc_lo, 31, v17
	v_lshlrev_b32_e32 v9, v9, v16
	v_lshrrev_b32_e32 v13, 2, v13
	v_cmp_eq_u32_e64 s0, 3, v23
	v_lshl_or_b32 v15, v15, 9, 0x7c00
	v_cndmask_b32_e32 v8, 0x7c00, v8, vcc_lo
	v_cmp_lt_i32_e32 vcc_lo, 5, v23
	v_mul_f16_sdwa v5, v118, v5 dst_sel:DWORD dst_unused:UNUSED_PAD src0_sel:WORD_1 src1_sel:DWORD
	v_cndmask_b32_e64 v15, v8, v15, s1
	v_cmp_ne_u32_e64 s1, v9, v20
	v_cvt_f32_f16_e32 v8, v22
	s_or_b32 vcc_lo, s0, vcc_lo
	v_fma_f16 v5, v118, v21, -v5
	v_add_co_ci_u32_e32 v13, vcc_lo, 0, v13, vcc_lo
	v_cndmask_b32_e64 v17, 0, 1, s1
	v_cmp_ne_u32_e32 vcc_lo, 0, v18
	v_cvt_f64_f32_e32 v[8:9], v8
	v_and_or_b32 v6, 0x1ff, v7, v6
	v_bfe_u32 v20, v7, 20, 11
	v_or_b32_e32 v16, v16, v17
	v_lshl_or_b32 v17, v19, 12, v11
	v_cndmask_b32_e64 v18, 0, 1, vcc_lo
	v_cmp_gt_i32_e32 vcc_lo, 1, v19
	v_and_or_b32 v4, 0x8000, v4, v15
	v_lshl_or_b32 v18, v18, 9, 0x7c00
	v_cndmask_b32_e32 v16, v17, v16, vcc_lo
	v_cmp_ne_u32_e32 vcc_lo, 0, v6
	v_lshrrev_b32_e32 v17, 8, v7
	v_and_b32_e32 v4, 0xffff, v4
	v_and_b32_e32 v22, 7, v16
	v_cndmask_b32_e64 v6, 0, 1, vcc_lo
	v_cmp_gt_i32_e32 vcc_lo, 31, v14
	v_cmp_eq_u32_e64 s0, 3, v22
	v_and_or_b32 v17, 0xffe, v17, v6
	v_cndmask_b32_e32 v13, 0x7c00, v13, vcc_lo
	v_cmp_eq_u32_e32 vcc_lo, 0x40f, v14
	v_sub_nc_u32_e32 v6, 0x3f1, v20
	v_mul_f64 v[8:9], v[8:9], s[2:3]
	v_or_b32_e32 v14, 0x1000, v17
	v_cndmask_b32_e32 v13, v13, v18, vcc_lo
	v_med3_i32 v6, v6, 0, 13
	v_cmp_lt_i32_e32 vcc_lo, 5, v22
	v_and_or_b32 v3, 0x8000, v3, v13
	v_lshrrev_b32_e32 v13, 2, v16
	v_lshrrev_b32_e32 v15, v6, v14
	s_or_b32 vcc_lo, s0, vcc_lo
	v_lshl_or_b32 v16, v3, 16, v4
	v_add_co_ci_u32_e32 v13, vcc_lo, 0, v13, vcc_lo
	v_lshlrev_b32_e32 v6, v6, v15
	v_cmp_ne_u32_e32 vcc_lo, 0, v11
	v_cvt_f32_f16_e32 v3, v5
	v_cndmask_b32_e64 v11, 0, 1, vcc_lo
	v_cmp_ne_u32_e32 vcc_lo, v6, v14
	v_and_or_b32 v8, 0x1ff, v9, v8
	v_add_nc_u32_e32 v14, 0xfffffc10, v20
	v_lshrrev_b32_e32 v18, 8, v9
	v_bfe_u32 v20, v9, 20, 11
	v_cndmask_b32_e64 v5, 0, 1, vcc_lo
	v_cmp_gt_i32_e32 vcc_lo, 31, v19
	v_cvt_f64_f32_e32 v[3:4], v3
	v_lshrrev_b32_e32 v9, 16, v9
	v_or_b32_e32 v5, v15, v5
	v_cndmask_b32_e32 v6, 0x7c00, v13, vcc_lo
	v_cmp_ne_u32_e32 vcc_lo, 0, v8
	v_lshrrev_b32_e32 v13, 16, v10
	v_lshl_or_b32 v15, v14, 12, v17
	v_cndmask_b32_e64 v8, 0, 1, vcc_lo
	v_cmp_gt_i32_e32 vcc_lo, 1, v14
	v_mul_f16_sdwa v21, v117, v13 dst_sel:DWORD dst_unused:UNUSED_PAD src0_sel:WORD_1 src1_sel:DWORD
	v_and_or_b32 v18, 0xffe, v18, v8
	v_sub_nc_u32_e32 v8, 0x3f1, v20
	v_cndmask_b32_e32 v15, v15, v5, vcc_lo
	v_fmac_f16_e32 v21, v117, v10
	v_lshl_or_b32 v5, v11, 9, 0x7c00
	v_or_b32_e32 v11, 0x1000, v18
	v_med3_i32 v8, v8, 0, 13
	v_and_b32_e32 v22, 7, v15
	v_cmp_eq_u32_e32 vcc_lo, 0x40f, v19
	v_cvt_f32_f16_e32 v21, v21
	v_mul_f64 v[3:4], v[3:4], s[2:3]
	v_lshrrev_b32_e32 v23, v8, v11
	v_cmp_eq_u32_e64 s0, 3, v22
	v_cndmask_b32_e32 v19, v6, v5, vcc_lo
	v_cmp_lt_i32_e32 vcc_lo, 5, v22
	v_cvt_f64_f32_e32 v[5:6], v21
	v_lshrrev_b32_e32 v21, 16, v12
	v_lshrrev_b32_e32 v12, 2, v15
	v_lshlrev_b32_e32 v8, v8, v23
	s_or_b32 vcc_lo, s0, vcc_lo
	v_mul_f16_sdwa v10, v117, v10 dst_sel:DWORD dst_unused:UNUSED_PAD src0_sel:WORD_1 src1_sel:DWORD
	v_add_nc_u32_e32 v15, 0xfffffc10, v20
	v_add_co_ci_u32_e32 v12, vcc_lo, 0, v12, vcc_lo
	v_cmp_ne_u32_e32 vcc_lo, v8, v11
	v_fma_f16 v10, v117, v13, -v10
	v_and_or_b32 v19, 0x8000, v21, v19
	v_cndmask_b32_e64 v8, 0, 1, vcc_lo
	v_cmp_ne_u32_e32 vcc_lo, 0, v17
	v_cvt_f32_f16_e32 v10, v10
	v_lshl_or_b32 v17, v15, 12, v18
	v_and_or_b32 v3, 0x1ff, v4, v3
	v_or_b32_e32 v8, v23, v8
	v_cndmask_b32_e64 v13, 0, 1, vcc_lo
	v_cmp_gt_i32_e32 vcc_lo, 31, v14
	v_cvt_f64_f32_e32 v[10:11], v10
	v_mul_f64 v[5:6], v[5:6], s[2:3]
	v_and_b32_e32 v19, 0xffff, v19
	v_lshl_or_b32 v22, v13, 9, 0x7c00
	v_cndmask_b32_e32 v20, 0x7c00, v12, vcc_lo
	v_add_co_u32 v12, vcc_lo, v0, s5
	v_add_co_ci_u32_e32 v13, vcc_lo, s4, v1, vcc_lo
	v_cmp_gt_i32_e32 vcc_lo, 1, v15
	v_cndmask_b32_e32 v17, v17, v8, vcc_lo
	v_cmp_eq_u32_e32 vcc_lo, 0x40f, v14
	v_lshrrev_b32_e32 v8, 8, v4
	v_and_b32_e32 v23, 7, v17
	v_cndmask_b32_e32 v14, v20, v22, vcc_lo
	v_cmp_ne_u32_e32 vcc_lo, 0, v3
	v_bfe_u32 v20, v4, 20, 11
	v_lshrrev_b32_e32 v22, 16, v7
	v_cmp_eq_u32_e64 s0, 3, v23
	v_lshrrev_b32_e32 v17, 2, v17
	v_cndmask_b32_e64 v3, 0, 1, vcc_lo
	v_sub_nc_u32_e32 v21, 0x3f1, v20
	v_cmp_lt_i32_e32 vcc_lo, 5, v23
	v_and_or_b32 v5, 0x1ff, v6, v5
	v_bfe_u32 v23, v6, 20, 11
	v_and_or_b32 v3, 0xffe, v8, v3
	v_mul_f64 v[7:8], v[10:11], s[2:3]
	v_and_or_b32 v10, 0x8000, v22, v14
	v_med3_i32 v14, v21, 0, 13
	s_or_b32 vcc_lo, s0, vcc_lo
	v_or_b32_e32 v11, 0x1000, v3
	v_add_co_ci_u32_e32 v17, vcc_lo, 0, v17, vcc_lo
	v_cmp_ne_u32_e32 vcc_lo, 0, v5
	v_lshrrev_b32_e32 v22, 8, v6
	v_lshrrev_b32_e32 v21, v14, v11
	;; [unrolled: 1-line block ×4, first 2 shown]
	v_cndmask_b32_e64 v5, 0, 1, vcc_lo
	v_cmp_ne_u32_e32 vcc_lo, 0, v18
	v_lshlrev_b32_e32 v14, v14, v21
	v_lshl_or_b32 v10, v10, 16, v19
	v_and_or_b32 v5, 0xffe, v22, v5
	v_cndmask_b32_e64 v18, 0, 1, vcc_lo
	v_cmp_ne_u32_e32 vcc_lo, v14, v11
	v_sub_nc_u32_e32 v22, 0x3f1, v23
	v_add_nc_u32_e32 v14, 0xfffffc10, v20
	v_and_or_b32 v7, 0x1ff, v8, v7
	v_or_b32_e32 v20, 0x1000, v5
	v_cndmask_b32_e64 v11, 0, 1, vcc_lo
	v_cmp_gt_i32_e32 vcc_lo, 31, v15
	v_med3_i32 v22, v22, 0, 13
	v_lshrrev_b32_e32 v24, 8, v8
	v_bfe_u32 v25, v8, 20, 11
	v_or_b32_e32 v11, v21, v11
	v_cndmask_b32_e32 v17, 0x7c00, v17, vcc_lo
	v_cmp_ne_u32_e32 vcc_lo, 0, v7
	v_lshl_or_b32 v21, v14, 12, v3
	v_lshrrev_b32_e32 v26, v22, v20
	v_lshl_or_b32 v18, v18, 9, 0x7c00
	v_cndmask_b32_e64 v7, 0, 1, vcc_lo
	v_cmp_gt_i32_e32 vcc_lo, 1, v14
	v_and_or_b32 v7, 0xffe, v24, v7
	v_sub_nc_u32_e32 v24, 0x3f1, v25
	v_cndmask_b32_e32 v11, v21, v11, vcc_lo
	v_lshlrev_b32_e32 v21, v22, v26
	v_cmp_eq_u32_e32 vcc_lo, 0x40f, v15
	v_or_b32_e32 v22, 0x1000, v7
	v_med3_i32 v24, v24, 0, 13
	v_and_b32_e32 v27, 7, v11
	v_lshrrev_b32_e32 v11, 2, v11
	v_cndmask_b32_e32 v15, v17, v18, vcc_lo
	v_cmp_ne_u32_e32 vcc_lo, v21, v20
	v_add_nc_u32_e32 v18, 0xfffffc10, v23
	v_lshrrev_b32_e32 v20, v24, v22
	v_cmp_eq_u32_e64 s0, 3, v27
	v_and_or_b32 v9, 0x8000, v9, v15
	v_cndmask_b32_e64 v17, 0, 1, vcc_lo
	v_lshl_or_b32 v21, v18, 12, v5
	v_lshlrev_b32_e32 v23, v24, v20
	v_cmp_gt_i32_e64 s1, 1, v18
	v_cmp_lt_i32_e32 vcc_lo, 5, v27
	v_or_b32_e32 v17, v26, v17
	v_and_b32_e32 v9, 0xffff, v9
	s_or_b32 vcc_lo, s0, vcc_lo
	v_cndmask_b32_e64 v17, v21, v17, s1
	v_cmp_ne_u32_e64 s1, v23, v22
	v_add_nc_u32_e32 v22, 0xfffffc10, v25
	v_add_co_ci_u32_e32 v11, vcc_lo, 0, v11, vcc_lo
	v_and_b32_e32 v23, 7, v17
	v_cndmask_b32_e64 v21, 0, 1, s1
	v_cmp_ne_u32_e32 vcc_lo, 0, v3
	v_cmp_gt_i32_e64 s0, 1, v22
	v_lshrrev_b32_e32 v17, 2, v17
	v_cmp_gt_i32_e64 s1, 31, v14
	v_or_b32_e32 v20, v20, v21
	v_lshl_or_b32 v21, v22, 12, v7
	v_cndmask_b32_e64 v3, 0, 1, vcc_lo
	v_cmp_lt_i32_e32 vcc_lo, 5, v23
	v_cndmask_b32_e64 v11, 0x7c00, v11, s1
	v_cmp_eq_u32_e64 s1, 0x40f, v14
	v_cndmask_b32_e64 v15, v21, v20, s0
	v_cmp_eq_u32_e64 s0, 3, v23
	v_lshl_or_b32 v3, v3, 9, 0x7c00
	v_and_b32_e32 v20, 7, v15
	s_or_b32 vcc_lo, s0, vcc_lo
	v_cndmask_b32_e64 v3, v11, v3, s1
	v_add_co_ci_u32_e32 v17, vcc_lo, 0, v17, vcc_lo
	v_cmp_ne_u32_e32 vcc_lo, 0, v5
	v_cmp_eq_u32_e64 s0, 3, v20
	v_lshrrev_b32_e32 v11, 2, v15
	v_cmp_gt_i32_e64 s1, 31, v18
	v_cndmask_b32_e64 v5, 0, 1, vcc_lo
	v_cmp_lt_i32_e32 vcc_lo, 5, v20
	v_cndmask_b32_e64 v14, 0x7c00, v17, s1
	v_lshl_or_b32 v5, v5, 9, 0x7c00
	s_or_b32 vcc_lo, s0, vcc_lo
	v_add_co_ci_u32_e32 v11, vcc_lo, 0, v11, vcc_lo
	v_cmp_ne_u32_e32 vcc_lo, 0, v7
	v_cndmask_b32_e64 v7, 0, 1, vcc_lo
	v_cmp_eq_u32_e32 vcc_lo, 0x40f, v18
	v_lshl_or_b32 v7, v7, 9, 0x7c00
	v_cndmask_b32_e32 v5, v14, v5, vcc_lo
	v_cmp_gt_i32_e32 vcc_lo, 31, v22
	v_and_or_b32 v14, 0x8000, v4, v3
	v_and_or_b32 v5, 0x8000, v6, v5
	v_cndmask_b32_e32 v11, 0x7c00, v11, vcc_lo
	v_cmp_eq_u32_e32 vcc_lo, 0x40f, v22
	v_lshl_or_b32 v9, v14, 16, v9
	v_cndmask_b32_e32 v6, v11, v7, vcc_lo
	v_lshrrev_b32_e32 v7, 16, v8
	v_add_co_u32 v3, vcc_lo, v12, s5
	v_add_co_ci_u32_e32 v4, vcc_lo, s4, v13, vcc_lo
	v_and_or_b32 v7, 0x8000, v7, v6
	v_and_b32_e32 v8, 0xffff, v5
	v_add_co_u32 v5, vcc_lo, v3, s5
	v_add_co_ci_u32_e32 v6, vcc_lo, s4, v4, vcc_lo
	v_lshl_or_b32 v11, v7, 16, v8
	v_add_co_u32 v7, vcc_lo, v5, s5
	v_add_co_ci_u32_e32 v8, vcc_lo, s4, v6, vcc_lo
	global_store_dword v[0:1], v2, off
	global_store_dword v[12:13], v16, off
	;; [unrolled: 1-line block ×5, first 2 shown]
.LBB0_2:
	s_endpgm
	.section	.rodata,"a",@progbits
	.p2align	6, 0x0
	.amdhsa_kernel bluestein_single_fwd_len4050_dim1_half_op_CI_CI
		.amdhsa_group_segment_fixed_size 16200
		.amdhsa_private_segment_fixed_size 0
		.amdhsa_kernarg_size 104
		.amdhsa_user_sgpr_count 6
		.amdhsa_user_sgpr_private_segment_buffer 1
		.amdhsa_user_sgpr_dispatch_ptr 0
		.amdhsa_user_sgpr_queue_ptr 0
		.amdhsa_user_sgpr_kernarg_segment_ptr 1
		.amdhsa_user_sgpr_dispatch_id 0
		.amdhsa_user_sgpr_flat_scratch_init 0
		.amdhsa_user_sgpr_private_segment_size 0
		.amdhsa_wavefront_size32 1
		.amdhsa_uses_dynamic_stack 0
		.amdhsa_system_sgpr_private_segment_wavefront_offset 0
		.amdhsa_system_sgpr_workgroup_id_x 1
		.amdhsa_system_sgpr_workgroup_id_y 0
		.amdhsa_system_sgpr_workgroup_id_z 0
		.amdhsa_system_sgpr_workgroup_info 0
		.amdhsa_system_vgpr_workitem_id 0
		.amdhsa_next_free_vgpr 248
		.amdhsa_next_free_sgpr 20
		.amdhsa_reserve_vcc 1
		.amdhsa_reserve_flat_scratch 0
		.amdhsa_float_round_mode_32 0
		.amdhsa_float_round_mode_16_64 0
		.amdhsa_float_denorm_mode_32 3
		.amdhsa_float_denorm_mode_16_64 3
		.amdhsa_dx10_clamp 1
		.amdhsa_ieee_mode 1
		.amdhsa_fp16_overflow 0
		.amdhsa_workgroup_processor_mode 1
		.amdhsa_memory_ordered 1
		.amdhsa_forward_progress 0
		.amdhsa_shared_vgpr_count 0
		.amdhsa_exception_fp_ieee_invalid_op 0
		.amdhsa_exception_fp_denorm_src 0
		.amdhsa_exception_fp_ieee_div_zero 0
		.amdhsa_exception_fp_ieee_overflow 0
		.amdhsa_exception_fp_ieee_underflow 0
		.amdhsa_exception_fp_ieee_inexact 0
		.amdhsa_exception_int_div_zero 0
	.end_amdhsa_kernel
	.text
.Lfunc_end0:
	.size	bluestein_single_fwd_len4050_dim1_half_op_CI_CI, .Lfunc_end0-bluestein_single_fwd_len4050_dim1_half_op_CI_CI
                                        ; -- End function
	.section	.AMDGPU.csdata,"",@progbits
; Kernel info:
; codeLenInByte = 54048
; NumSgprs: 22
; NumVgprs: 248
; ScratchSize: 0
; MemoryBound: 0
; FloatMode: 240
; IeeeMode: 1
; LDSByteSize: 16200 bytes/workgroup (compile time only)
; SGPRBlocks: 2
; VGPRBlocks: 30
; NumSGPRsForWavesPerEU: 22
; NumVGPRsForWavesPerEU: 248
; Occupancy: 4
; WaveLimiterHint : 1
; COMPUTE_PGM_RSRC2:SCRATCH_EN: 0
; COMPUTE_PGM_RSRC2:USER_SGPR: 6
; COMPUTE_PGM_RSRC2:TRAP_HANDLER: 0
; COMPUTE_PGM_RSRC2:TGID_X_EN: 1
; COMPUTE_PGM_RSRC2:TGID_Y_EN: 0
; COMPUTE_PGM_RSRC2:TGID_Z_EN: 0
; COMPUTE_PGM_RSRC2:TIDIG_COMP_CNT: 0
	.text
	.p2alignl 6, 3214868480
	.fill 48, 4, 3214868480
	.type	__hip_cuid_9964cc87d22c06db,@object ; @__hip_cuid_9964cc87d22c06db
	.section	.bss,"aw",@nobits
	.globl	__hip_cuid_9964cc87d22c06db
__hip_cuid_9964cc87d22c06db:
	.byte	0                               ; 0x0
	.size	__hip_cuid_9964cc87d22c06db, 1

	.ident	"AMD clang version 19.0.0git (https://github.com/RadeonOpenCompute/llvm-project roc-6.4.0 25133 c7fe45cf4b819c5991fe208aaa96edf142730f1d)"
	.section	".note.GNU-stack","",@progbits
	.addrsig
	.addrsig_sym __hip_cuid_9964cc87d22c06db
	.amdgpu_metadata
---
amdhsa.kernels:
  - .args:
      - .actual_access:  read_only
        .address_space:  global
        .offset:         0
        .size:           8
        .value_kind:     global_buffer
      - .actual_access:  read_only
        .address_space:  global
        .offset:         8
        .size:           8
        .value_kind:     global_buffer
      - .actual_access:  read_only
        .address_space:  global
        .offset:         16
        .size:           8
        .value_kind:     global_buffer
      - .actual_access:  read_only
        .address_space:  global
        .offset:         24
        .size:           8
        .value_kind:     global_buffer
      - .actual_access:  read_only
        .address_space:  global
        .offset:         32
        .size:           8
        .value_kind:     global_buffer
      - .offset:         40
        .size:           8
        .value_kind:     by_value
      - .address_space:  global
        .offset:         48
        .size:           8
        .value_kind:     global_buffer
      - .address_space:  global
        .offset:         56
        .size:           8
        .value_kind:     global_buffer
      - .address_space:  global
        .offset:         64
        .size:           8
        .value_kind:     global_buffer
      - .address_space:  global
        .offset:         72
        .size:           8
        .value_kind:     global_buffer
      - .offset:         80
        .size:           4
        .value_kind:     by_value
      - .address_space:  global
        .offset:         88
        .size:           8
        .value_kind:     global_buffer
      - .address_space:  global
        .offset:         96
        .size:           8
        .value_kind:     global_buffer
    .group_segment_fixed_size: 16200
    .kernarg_segment_align: 8
    .kernarg_segment_size: 104
    .language:       OpenCL C
    .language_version:
      - 2
      - 0
    .max_flat_workgroup_size: 135
    .name:           bluestein_single_fwd_len4050_dim1_half_op_CI_CI
    .private_segment_fixed_size: 0
    .sgpr_count:     22
    .sgpr_spill_count: 0
    .symbol:         bluestein_single_fwd_len4050_dim1_half_op_CI_CI.kd
    .uniform_work_group_size: 1
    .uses_dynamic_stack: false
    .vgpr_count:     248
    .vgpr_spill_count: 0
    .wavefront_size: 32
    .workgroup_processor_mode: 1
amdhsa.target:   amdgcn-amd-amdhsa--gfx1030
amdhsa.version:
  - 1
  - 2
...

	.end_amdgpu_metadata
